;; amdgpu-corpus repo=ROCm/rocFFT kind=compiled arch=gfx906 opt=O3
	.text
	.amdgcn_target "amdgcn-amd-amdhsa--gfx906"
	.amdhsa_code_object_version 6
	.protected	bluestein_single_back_len792_dim1_half_op_CI_CI ; -- Begin function bluestein_single_back_len792_dim1_half_op_CI_CI
	.globl	bluestein_single_back_len792_dim1_half_op_CI_CI
	.p2align	8
	.type	bluestein_single_back_len792_dim1_half_op_CI_CI,@function
bluestein_single_back_len792_dim1_half_op_CI_CI: ; @bluestein_single_back_len792_dim1_half_op_CI_CI
; %bb.0:
	s_load_dwordx4 s[12:15], s[4:5], 0x28
	v_mul_u32_u24_e32 v1, 0x2e9, v0
	v_lshrrev_b32_e32 v2, 16, v1
	v_lshl_add_u32 v10, s6, 1, v2
	v_mov_b32_e32 v11, 0
	s_waitcnt lgkmcnt(0)
	v_cmp_gt_u64_e32 vcc, s[12:13], v[10:11]
	s_and_saveexec_b64 s[0:1], vcc
	s_cbranch_execz .LBB0_39
; %bb.1:
	s_load_dwordx4 s[0:3], s[4:5], 0x18
	s_load_dwordx2 s[12:13], s[4:5], 0x0
	v_mul_lo_u16_e32 v1, 0x58, v2
	v_sub_u16_e32 v39, v0, v1
	v_lshlrev_b32_e32 v42, 2, v39
	s_waitcnt lgkmcnt(0)
	s_load_dwordx4 s[8:11], s[0:1], 0x0
	global_load_dword v40, v42, s[12:13]
	v_mov_b32_e32 v8, 0x318
	s_load_dwordx2 s[6:7], s[4:5], 0x38
	s_waitcnt lgkmcnt(0)
	v_mad_u64_u32 v[0:1], s[0:1], s10, v10, 0
	v_mad_u64_u32 v[3:4], s[0:1], s8, v39, 0
	v_mad_u64_u32 v[5:6], s[0:1], s11, v10, v[1:2]
	v_and_b32_e32 v2, 1, v2
	v_mad_u64_u32 v[6:7], s[0:1], s9, v39, v[4:5]
	v_mov_b32_e32 v1, v5
	v_lshlrev_b64 v[0:1], 2, v[0:1]
	v_mov_b32_e32 v7, s15
	v_mov_b32_e32 v4, v6
	v_add_co_u32_e32 v5, vcc, s14, v0
	v_addc_co_u32_e32 v6, vcc, v7, v1, vcc
	v_lshlrev_b64 v[0:1], 2, v[3:4]
	s_mul_i32 s0, s9, 0x18c
	s_mul_hi_u32 s1, s8, 0x18c
	v_add_co_u32_e32 v0, vcc, v5, v0
	s_add_i32 s1, s1, s0
	s_mul_i32 s0, s8, 0x18c
	v_addc_co_u32_e32 v1, vcc, v6, v1, vcc
	s_lshl_b64 s[14:15], s[0:1], 2
	global_load_dword v3, v[0:1], off
	v_mov_b32_e32 v4, s15
	v_add_co_u32_e32 v0, vcc, s14, v0
	v_addc_co_u32_e32 v1, vcc, v1, v4, vcc
	s_mul_hi_u32 s1, s8, 0xfffffecc
	global_load_dword v5, v[0:1], off
	global_load_dword v38, v42, s[12:13] offset:1584
	s_mul_i32 s0, s9, 0xfffffecc
	s_sub_i32 s1, s1, s8
	s_add_i32 s1, s1, s0
	s_mul_i32 s0, s8, 0xfffffecc
	s_lshl_b64 s[16:17], s[0:1], 2
	v_mov_b32_e32 v6, s17
	v_add_co_u32_e32 v0, vcc, s16, v0
	v_addc_co_u32_e32 v1, vcc, v1, v6, vcc
	global_load_dword v7, v[0:1], off
	global_load_dword v37, v42, s[12:13] offset:352
	v_add_co_u32_e32 v0, vcc, s14, v0
	v_addc_co_u32_e32 v1, vcc, v1, v4, vcc
	global_load_dword v11, v[0:1], off
	global_load_dword v36, v42, s[12:13] offset:1936
	;; [unrolled: 4-line block ×5, first 2 shown]
	global_load_dword v33, v42, s[12:13] offset:1056
	v_add_co_u32_e32 v0, vcc, s14, v0
	v_addc_co_u32_e32 v1, vcc, v1, v4, vcc
	global_load_dword v4, v[0:1], off
	v_cmp_eq_u32_e32 vcc, 1, v2
	v_cndmask_b32_e32 v2, 0, v8, vcc
	v_lshlrev_b32_e32 v41, 2, v2
	v_mov_b32_e32 v2, s13
	v_add_co_u32_e32 v8, vcc, s12, v42
	v_addc_co_u32_e32 v9, vcc, 0, v2, vcc
	v_add_u32_e32 v31, v41, v42
	s_load_dwordx4 s[8:11], s[2:3], 0x0
	v_cmp_gt_u16_e64 s[0:1], 44, v39
	s_waitcnt vmcnt(14)
	v_lshrrev_b32_e32 v2, 16, v3
	v_mul_f16_sdwa v14, v40, v3 dst_sel:DWORD dst_unused:UNUSED_PAD src0_sel:WORD_1 src1_sel:DWORD
	v_fma_f16 v14, v40, v2, -v14
	v_mul_f16_sdwa v2, v40, v2 dst_sel:DWORD dst_unused:UNUSED_PAD src0_sel:WORD_1 src1_sel:DWORD
	v_fma_f16 v2, v40, v3, v2
	v_pack_b32_f16 v2, v2, v14
	s_waitcnt vmcnt(13)
	v_lshrrev_b32_e32 v15, 16, v5
	s_waitcnt vmcnt(12)
	v_mul_f16_sdwa v3, v38, v15 dst_sel:DWORD dst_unused:UNUSED_PAD src0_sel:WORD_1 src1_sel:DWORD
	v_fma_f16 v3, v38, v5, v3
	v_mul_f16_sdwa v5, v38, v5 dst_sel:DWORD dst_unused:UNUSED_PAD src0_sel:WORD_1 src1_sel:DWORD
	v_fma_f16 v5, v38, v15, -v5
	v_pack_b32_f16 v3, v3, v5
	ds_write_b32 v31, v3 offset:1584
	s_waitcnt vmcnt(11)
	v_lshrrev_b32_e32 v3, 16, v7
	s_waitcnt vmcnt(10)
	v_mul_f16_sdwa v5, v37, v3 dst_sel:DWORD dst_unused:UNUSED_PAD src0_sel:WORD_1 src1_sel:DWORD
	v_fma_f16 v5, v37, v7, v5
	v_mul_f16_sdwa v7, v37, v7 dst_sel:DWORD dst_unused:UNUSED_PAD src0_sel:WORD_1 src1_sel:DWORD
	v_fma_f16 v3, v37, v3, -v7
	v_pack_b32_f16 v3, v5, v3
	ds_write2_b32 v31, v2, v3 offset1:88
	s_waitcnt vmcnt(9)
	v_lshrrev_b32_e32 v2, 16, v11
	s_waitcnt vmcnt(8)
	v_mul_f16_sdwa v3, v36, v2 dst_sel:DWORD dst_unused:UNUSED_PAD src0_sel:WORD_1 src1_sel:DWORD
	v_mul_f16_sdwa v5, v36, v11 dst_sel:DWORD dst_unused:UNUSED_PAD src0_sel:WORD_1 src1_sel:DWORD
	v_fma_f16 v3, v36, v11, v3
	v_fma_f16 v2, v36, v2, -v5
	v_pack_b32_f16 v2, v3, v2
	s_waitcnt vmcnt(7)
	v_lshrrev_b32_e32 v3, 16, v12
	s_waitcnt vmcnt(6)
	v_mul_f16_sdwa v5, v35, v3 dst_sel:DWORD dst_unused:UNUSED_PAD src0_sel:WORD_1 src1_sel:DWORD
	v_mul_f16_sdwa v7, v35, v12 dst_sel:DWORD dst_unused:UNUSED_PAD src0_sel:WORD_1 src1_sel:DWORD
	v_fma_f16 v5, v35, v12, v5
	v_fma_f16 v3, v35, v3, -v7
	v_pack_b32_f16 v3, v5, v3
	;; [unrolled: 8-line block ×3, first 2 shown]
	v_add_u32_e32 v7, 0x600, v31
	ds_write2_b32 v7, v2, v5 offset0:100 offset1:188
	s_waitcnt vmcnt(3)
	v_lshrrev_b32_e32 v2, 16, v6
	s_waitcnt vmcnt(1)
	v_mul_f16_sdwa v5, v33, v2 dst_sel:DWORD dst_unused:UNUSED_PAD src0_sel:WORD_1 src1_sel:DWORD
	v_fma_f16 v5, v33, v6, v5
	v_mul_f16_sdwa v6, v33, v6 dst_sel:DWORD dst_unused:UNUSED_PAD src0_sel:WORD_1 src1_sel:DWORD
	v_fma_f16 v2, v33, v2, -v6
	v_pack_b32_f16 v5, v5, v2
	v_add_u32_e32 v2, 0x200, v31
	ds_write2_b32 v2, v3, v5 offset0:48 offset1:136
	s_waitcnt vmcnt(0)
	v_lshrrev_b32_e32 v3, 16, v4
	v_mul_f16_sdwa v5, v32, v3 dst_sel:DWORD dst_unused:UNUSED_PAD src0_sel:WORD_1 src1_sel:DWORD
	v_fma_f16 v5, v32, v4, v5
	v_mul_f16_sdwa v4, v32, v4 dst_sel:DWORD dst_unused:UNUSED_PAD src0_sel:WORD_1 src1_sel:DWORD
	v_fma_f16 v3, v32, v3, -v4
	v_pack_b32_f16 v3, v5, v3
	ds_write_b32 v31, v3 offset:2640
	s_and_saveexec_b64 s[2:3], s[0:1]
	s_cbranch_execz .LBB0_3
; %bb.2:
	v_mov_b32_e32 v3, s17
	v_add_co_u32_e32 v0, vcc, s16, v0
	v_addc_co_u32_e32 v1, vcc, v1, v3, vcc
	global_load_dword v3, v[0:1], off
	global_load_dword v4, v[8:9], off offset:1408
	v_mov_b32_e32 v5, s15
	v_add_co_u32_e32 v0, vcc, s14, v0
	v_addc_co_u32_e32 v1, vcc, v1, v5, vcc
	global_load_dword v5, v[0:1], off
	global_load_dword v6, v[8:9], off offset:2992
	s_waitcnt vmcnt(3)
	v_lshrrev_b32_e32 v0, 16, v3
	s_waitcnt vmcnt(2)
	v_mul_f16_sdwa v1, v4, v3 dst_sel:DWORD dst_unused:UNUSED_PAD src0_sel:WORD_1 src1_sel:DWORD
	v_mul_f16_sdwa v7, v4, v0 dst_sel:DWORD dst_unused:UNUSED_PAD src0_sel:WORD_1 src1_sel:DWORD
	v_fma_f16 v0, v4, v0, -v1
	v_fma_f16 v3, v4, v3, v7
	v_pack_b32_f16 v0, v3, v0
	s_waitcnt vmcnt(1)
	v_lshrrev_b32_e32 v1, 16, v5
	s_waitcnt vmcnt(0)
	v_mul_f16_sdwa v11, v6, v5 dst_sel:DWORD dst_unused:UNUSED_PAD src0_sel:WORD_1 src1_sel:DWORD
	v_mul_f16_sdwa v4, v6, v1 dst_sel:DWORD dst_unused:UNUSED_PAD src0_sel:WORD_1 src1_sel:DWORD
	v_fma_f16 v1, v6, v1, -v11
	v_fma_f16 v3, v6, v5, v4
	ds_write_b32 v31, v0 offset:1408
	v_pack_b32_f16 v0, v3, v1
	ds_write_b32 v31, v0 offset:2992
.LBB0_3:
	s_or_b64 exec, exec, s[2:3]
	v_add_u32_e32 v0, 0x400, v31
	v_add_u32_e32 v6, 0x800, v31
	s_waitcnt lgkmcnt(0)
	s_barrier
	ds_read2_b32 v[4:5], v31 offset1:88
	ds_read2_b32 v[0:1], v0 offset0:140 offset1:228
	ds_read2_b32 v[2:3], v2 offset0:48 offset1:136
	;; [unrolled: 1-line block ×3, first 2 shown]
                                        ; implicit-def: $vgpr11
                                        ; implicit-def: $vgpr12
	s_and_saveexec_b64 s[2:3], s[0:1]
	s_cbranch_execz .LBB0_5
; %bb.4:
	ds_read_b32 v11, v31 offset:1408
	ds_read_b32 v12, v31 offset:2992
.LBB0_5:
	s_or_b64 exec, exec, s[2:3]
	s_load_dwordx2 s[2:3], s[4:5], 0x8
	s_waitcnt lgkmcnt(0)
	v_pk_add_f16 v15, v4, v0 neg_lo:[0,1] neg_hi:[0,1]
	v_add_co_u32_e32 v13, vcc, 0x58, v39
	v_add_co_u32_e32 v17, vcc, 0xb0, v39
	v_lshlrev_b32_e32 v16, 1, v39
	v_pk_add_f16 v21, v5, v1 neg_lo:[0,1] neg_hi:[0,1]
	v_pk_add_f16 v6, v2, v6 neg_lo:[0,1] neg_hi:[0,1]
	v_lshl_add_u32 v47, v39, 3, v41
	v_pk_fma_f16 v14, v4, 2.0, v15 op_sel_hi:[1,0,1] neg_lo:[0,0,1] neg_hi:[0,0,1]
	v_add_co_u32_e32 v19, vcc, 0x160, v39
	v_pk_add_f16 v7, v3, v7 neg_lo:[0,1] neg_hi:[0,1]
	v_pk_add_f16 v1, v11, v12 neg_lo:[0,1] neg_hi:[0,1]
	s_barrier
	ds_write_b64 v47, v[14:15]
	v_lshl_add_u32 v48, v13, 3, v41
	v_pk_fma_f16 v20, v5, 2.0, v21 op_sel_hi:[1,0,1] neg_lo:[0,0,1] neg_hi:[0,0,1]
	v_lshl_add_u32 v49, v17, 3, v41
	v_pk_fma_f16 v5, v2, 2.0, v6 op_sel_hi:[1,0,1] neg_lo:[0,0,1] neg_hi:[0,0,1]
	v_add_u32_e32 v14, 0x210, v16
	v_pk_fma_f16 v0, v11, 2.0, v1 op_sel_hi:[1,0,1] neg_lo:[0,0,1] neg_hi:[0,0,1]
	v_lshlrev_b32_e32 v18, 1, v13
	ds_write_b64 v48, v[20:21]
	v_lshlrev_b32_e32 v15, 1, v17
	ds_write_b64 v49, v[5:6]
	v_lshl_add_u32 v50, v14, 2, v41
	v_pk_fma_f16 v6, v3, 2.0, v7 op_sel_hi:[1,0,1] neg_lo:[0,0,1] neg_hi:[0,0,1]
	v_lshl_add_u32 v46, v19, 3, v41
	ds_write_b64 v50, v[6:7]
	s_and_saveexec_b64 s[4:5], s[0:1]
	s_cbranch_execz .LBB0_7
; %bb.6:
	ds_write_b64 v46, v[0:1]
.LBB0_7:
	s_or_b64 exec, exec, s[4:5]
	v_add_u32_e32 v4, 0x400, v31
	s_waitcnt lgkmcnt(0)
	s_barrier
	ds_read2_b32 v[6:7], v4 offset0:140 offset1:228
	v_add_u32_e32 v4, 0x200, v31
	v_add_u32_e32 v11, 0x800, v31
	ds_read2_b32 v[2:3], v31 offset1:88
	ds_read2_b32 v[4:5], v4 offset0:48 offset1:136
	ds_read2_b32 v[11:12], v11 offset0:60 offset1:148
	s_and_saveexec_b64 s[4:5], s[0:1]
	s_cbranch_execz .LBB0_9
; %bb.8:
	ds_read_b32 v0, v31 offset:1408
	ds_read_b32 v1, v31 offset:2992
.LBB0_9:
	s_or_b64 exec, exec, s[4:5]
	v_and_b32_e32 v43, 1, v39
	v_lshlrev_b32_e32 v20, 2, v43
	global_load_dword v45, v20, s[2:3]
	s_movk_i32 s4, 0xfc
	s_movk_i32 s5, 0x1fc
	s_waitcnt lgkmcnt(3)
	v_lshrrev_b32_e32 v20, 16, v6
	s_movk_i32 s14, 0x3fc
	v_and_or_b32 v30, v16, s4, v43
	v_and_or_b32 v44, v18, s5, v43
	v_lshrrev_b32_e32 v21, 16, v7
	s_waitcnt lgkmcnt(0)
	v_lshrrev_b32_e32 v25, 16, v11
	v_lshrrev_b32_e32 v27, 16, v12
	;; [unrolled: 1-line block ×3, first 2 shown]
	v_and_or_b32 v51, v15, s14, v43
	v_and_or_b32 v52, v14, s14, v43
	v_lshl_add_u32 v55, v30, 2, v41
	v_lshl_add_u32 v54, v44, 2, v41
	v_lshrrev_b32_e32 v22, 16, v2
	v_lshl_add_u32 v53, v51, 2, v41
	v_lshl_add_u32 v51, v52, 2, v41
	v_lshrrev_b32_e32 v23, 16, v3
	v_lshrrev_b32_e32 v24, 16, v4
	;; [unrolled: 1-line block ×4, first 2 shown]
	s_waitcnt vmcnt(0)
	s_barrier
	v_mul_f16_sdwa v30, v20, v45 dst_sel:DWORD dst_unused:UNUSED_PAD src0_sel:DWORD src1_sel:WORD_1
	v_mul_f16_sdwa v44, v6, v45 dst_sel:DWORD dst_unused:UNUSED_PAD src0_sel:DWORD src1_sel:WORD_1
	;; [unrolled: 1-line block ×10, first 2 shown]
	v_fma_f16 v6, v6, v45, -v30
	v_fma_f16 v20, v20, v45, v44
	v_fma_f16 v7, v7, v45, -v52
	v_fma_f16 v11, v11, v45, -v57
	;; [unrolled: 1-line block ×3, first 2 shown]
	v_fma_f16 v21, v21, v45, v56
	v_fma_f16 v25, v25, v45, v58
	;; [unrolled: 1-line block ×3, first 2 shown]
	v_fma_f16 v1, v1, v45, -v61
	v_fma_f16 v28, v28, v45, v62
	v_sub_f16_e32 v6, v2, v6
	v_sub_f16_e32 v30, v22, v20
	;; [unrolled: 1-line block ×10, first 2 shown]
	v_fma_f16 v1, v2, 2.0, -v6
	v_fma_f16 v2, v22, 2.0, -v30
	;; [unrolled: 1-line block ×10, first 2 shown]
	v_pack_b32_f16 v0, v6, v30
	v_pack_b32_f16 v6, v7, v44
	;; [unrolled: 1-line block ×3, first 2 shown]
	v_lshlrev_b32_e32 v44, 1, v19
	v_pack_b32_f16 v7, v52, v25
	v_pack_b32_f16 v25, v56, v27
	v_pack_b32_f16 v2, v3, v22
	v_pack_b32_f16 v3, v4, v23
	v_pack_b32_f16 v4, v5, v24
	ds_write2_b32 v55, v1, v0 offset1:2
	ds_write2_b32 v54, v2, v6 offset1:2
	;; [unrolled: 1-line block ×4, first 2 shown]
	s_and_saveexec_b64 s[4:5], s[0:1]
	s_cbranch_execz .LBB0_11
; %bb.10:
	v_and_or_b32 v0, v44, s14, v43
	s_mov_b32 s14, 0x5040100
	v_lshl_add_u32 v0, v0, 2, v41
	v_perm_b32 v1, v12, v11, s14
	v_perm_b32 v2, v21, v20, s14
	ds_write2_b32 v0, v1, v2 offset1:2
.LBB0_11:
	s_or_b64 exec, exec, s[4:5]
	v_add_u32_e32 v0, 0x400, v31
	s_waitcnt lgkmcnt(0)
	s_barrier
	ds_read2_b32 v[6:7], v0 offset0:140 offset1:228
	v_add_u32_e32 v0, 0x200, v31
	v_add_u32_e32 v4, 0x800, v31
	ds_read2_b32 v[2:3], v31 offset1:88
	ds_read2_b32 v[0:1], v0 offset0:48 offset1:136
	ds_read2_b32 v[4:5], v4 offset0:60 offset1:148
	s_and_saveexec_b64 s[4:5], s[0:1]
	s_cbranch_execz .LBB0_13
; %bb.12:
	ds_read_b32 v11, v31 offset:1408
	ds_read_b32 v20, v31 offset:2992
	s_waitcnt lgkmcnt(1)
	v_lshrrev_b32_e32 v12, 16, v11
	s_waitcnt lgkmcnt(0)
	v_lshrrev_b32_e32 v21, 16, v20
.LBB0_13:
	s_or_b64 exec, exec, s[4:5]
	v_and_b32_e32 v52, 3, v39
	v_lshlrev_b32_e32 v29, 2, v52
	global_load_dword v56, v29, s[2:3] offset:8
	s_waitcnt lgkmcnt(3)
	v_lshrrev_b32_e32 v22, 16, v6
	v_lshrrev_b32_e32 v24, 16, v7
	s_waitcnt lgkmcnt(0)
	v_lshrrev_b32_e32 v26, 16, v4
	v_lshrrev_b32_e32 v28, 16, v5
	;; [unrolled: 1-line block ×3, first 2 shown]
	s_movk_i32 s4, 0xf8
	v_lshrrev_b32_e32 v23, 16, v3
	v_and_or_b32 v16, v16, s4, v52
	v_lshl_add_u32 v57, v16, 2, v41
	s_movk_i32 s4, 0x1f8
	v_lshrrev_b32_e32 v25, 16, v0
	s_waitcnt vmcnt(0)
	s_barrier
	s_movk_i32 s14, 0x3f8
	v_lshrrev_b32_e32 v27, 16, v1
	v_mul_f16_sdwa v29, v22, v56 dst_sel:DWORD dst_unused:UNUSED_PAD src0_sel:DWORD src1_sel:WORD_1
	v_fma_f16 v29, v6, v56, -v29
	v_mul_f16_sdwa v6, v6, v56 dst_sel:DWORD dst_unused:UNUSED_PAD src0_sel:DWORD src1_sel:WORD_1
	v_fma_f16 v6, v22, v56, v6
	v_mul_f16_sdwa v22, v24, v56 dst_sel:DWORD dst_unused:UNUSED_PAD src0_sel:DWORD src1_sel:WORD_1
	v_fma_f16 v22, v7, v56, -v22
	v_mul_f16_sdwa v7, v7, v56 dst_sel:DWORD dst_unused:UNUSED_PAD src0_sel:DWORD src1_sel:WORD_1
	v_fma_f16 v7, v24, v56, v7
	;; [unrolled: 4-line block ×5, first 2 shown]
	v_sub_f16_e32 v21, v2, v29
	v_sub_f16_e32 v6, v19, v6
	v_fma_f16 v2, v2, 2.0, -v21
	v_fma_f16 v19, v19, 2.0, -v6
	v_sub_f16_e32 v29, v3, v22
	v_sub_f16_e32 v7, v23, v7
	v_pack_b32_f16 v2, v2, v19
	v_pack_b32_f16 v6, v21, v6
	v_fma_f16 v3, v3, 2.0, -v29
	v_fma_f16 v23, v23, 2.0, -v7
	ds_write2_b32 v57, v2, v6 offset1:4
	v_and_or_b32 v2, v18, s4, v52
	v_sub_f16_e32 v24, v0, v24
	v_sub_f16_e32 v4, v25, v4
	v_lshl_add_u32 v58, v2, 2, v41
	v_pack_b32_f16 v2, v3, v23
	v_pack_b32_f16 v3, v29, v7
	v_fma_f16 v0, v0, 2.0, -v24
	v_fma_f16 v25, v25, 2.0, -v4
	ds_write2_b32 v58, v2, v3 offset1:4
	v_and_or_b32 v2, v15, s14, v52
	v_sub_f16_e32 v26, v1, v26
	v_sub_f16_e32 v5, v27, v5
	v_lshl_add_u32 v59, v2, 2, v41
	;; [unrolled: 9-line block ×3, first 2 shown]
	v_pack_b32_f16 v0, v1, v27
	v_pack_b32_f16 v1, v26, v5
	ds_write2_b32 v60, v0, v1 offset1:4
	s_and_saveexec_b64 s[4:5], s[0:1]
	s_cbranch_execz .LBB0_15
; %bb.14:
	v_fma_f16 v0, v11, 2.0, -v22
	v_fma_f16 v1, v12, 2.0, -v67
	v_and_or_b32 v2, v44, s14, v52
	s_mov_b32 s14, 0x5040100
	v_lshl_add_u32 v2, v2, 2, v41
	v_pack_b32_f16 v0, v0, v1
	v_perm_b32 v1, v67, v22, s14
	ds_write2_b32 v2, v0, v1 offset1:4
.LBB0_15:
	s_or_b64 exec, exec, s[4:5]
	v_and_b32_e32 v16, 7, v39
	v_lshlrev_b32_e32 v0, 3, v16
	s_waitcnt lgkmcnt(0)
	s_barrier
	global_load_dwordx2 v[11:12], v0, s[2:3] offset:24
	v_add_u32_e32 v19, 0x200, v31
	ds_read2_b32 v[2:3], v31 offset1:88
	v_add_u32_e32 v0, 0x800, v31
	v_add_u32_e32 v1, 0x400, v31
	ds_read_b32 v18, v31 offset:2816
	ds_read2_b32 v[4:5], v19 offset0:48 offset1:136
	ds_read2_b32 v[6:7], v0 offset0:16 offset1:104
	;; [unrolled: 1-line block ×3, first 2 shown]
	s_waitcnt lgkmcnt(4)
	v_lshrrev_b32_e32 v21, 16, v3
	s_movk_i32 s4, 0x3aee
	s_waitcnt lgkmcnt(2)
	v_lshrrev_b32_e32 v24, 16, v5
	v_lshrrev_b32_e32 v23, 16, v18
	s_waitcnt lgkmcnt(0)
	v_lshrrev_b32_e32 v29, 16, v15
	v_lshrrev_b32_e32 v25, 16, v6
	;; [unrolled: 1-line block ×5, first 2 shown]
	s_mov_b32 s5, 0xbaee
	v_lshrrev_b32_e32 v20, 16, v2
	s_waitcnt vmcnt(0)
	s_barrier
	s_movk_i32 s14, 0xab
                                        ; implicit-def: $vgpr84
                                        ; implicit-def: $vgpr85
	v_mul_f16_sdwa v70, v15, v11 dst_sel:DWORD dst_unused:UNUSED_PAD src0_sel:DWORD src1_sel:WORD_1
	v_mul_f16_sdwa v72, v18, v12 dst_sel:DWORD dst_unused:UNUSED_PAD src0_sel:DWORD src1_sel:WORD_1
	;; [unrolled: 1-line block ×6, first 2 shown]
	v_fma_f16 v29, v29, v11, v70
	v_fma_f16 v23, v23, v12, v72
	v_mul_f16_sdwa v30, v24, v11 dst_sel:DWORD dst_unused:UNUSED_PAD src0_sel:DWORD src1_sel:WORD_1
	v_mul_f16_sdwa v61, v5, v11 dst_sel:DWORD dst_unused:UNUSED_PAD src0_sel:DWORD src1_sel:WORD_1
	;; [unrolled: 1-line block ×6, first 2 shown]
	v_fma_f16 v26, v26, v11, v65
	v_fma_f16 v27, v27, v12, v68
	v_fma_f16 v15, v15, v11, -v69
	v_fma_f16 v18, v18, v12, -v71
	v_sub_f16_e32 v71, v29, v23
	v_add_f16_e32 v72, v28, v29
	v_add_f16_e32 v29, v29, v23
	v_fma_f16 v5, v5, v11, -v30
	v_fma_f16 v24, v24, v11, v61
	v_fma_f16 v6, v6, v12, -v62
	v_fma_f16 v25, v25, v12, v63
	v_fma_f16 v7, v7, v12, -v66
	v_sub_f16_e32 v66, v26, v27
	v_add_f16_e32 v68, v21, v26
	v_add_f16_e32 v26, v26, v27
	;; [unrolled: 1-line block ×4, first 2 shown]
	v_fma_f16 v28, v29, -0.5, v28
	v_sub_f16_e32 v15, v15, v18
	v_add_f16_e32 v61, v5, v6
	v_sub_f16_e32 v62, v24, v25
	v_add_f16_e32 v63, v20, v24
	v_add_f16_e32 v24, v24, v25
	v_fma_f16 v21, v26, -0.5, v21
	v_add_f16_e32 v26, v69, v18
	v_fma_f16 v18, v15, s5, v28
	v_fma_f16 v15, v15, s4, v28
	v_lshrrev_b32_e32 v28, 3, v39
	v_add_f16_e32 v30, v2, v5
	v_sub_f16_e32 v5, v5, v6
	v_fma_f16 v2, v61, -0.5, v2
	v_fma_f16 v20, v24, -0.5, v20
	v_mul_u32_u24_e32 v28, 24, v28
	v_add_f16_e32 v6, v30, v6
	v_add_f16_e32 v24, v68, v27
	v_fma_f16 v27, v62, s4, v2
	v_fma_f16 v2, v62, s5, v2
	;; [unrolled: 1-line block ×4, first 2 shown]
	v_or_b32_e32 v28, v28, v16
	v_fma_f16 v14, v14, v11, -v64
	v_lshl_add_u32 v61, v28, 2, v41
	v_pack_b32_f16 v2, v2, v5
	v_add_f16_e32 v65, v14, v7
	ds_write_b32 v61, v2 offset:64
	v_lshrrev_b32_e32 v2, 3, v13
	v_add_f16_e32 v64, v3, v14
	v_sub_f16_e32 v14, v14, v7
	v_fma_f16 v3, v65, -0.5, v3
	v_mul_u32_u24_e32 v2, 24, v2
	v_add_f16_e32 v25, v63, v25
	v_add_f16_e32 v7, v64, v7
	v_fma_f16 v20, v66, s4, v3
	v_fma_f16 v63, v14, s5, v21
	v_or_b32_e32 v2, v2, v16
	v_fma_f16 v3, v66, s5, v3
	v_fma_f16 v14, v14, s4, v21
	v_pack_b32_f16 v6, v6, v25
	v_pack_b32_f16 v25, v27, v30
	v_lshl_add_u32 v62, v2, 2, v41
	v_pack_b32_f16 v2, v7, v24
	v_pack_b32_f16 v5, v20, v63
	ds_write2_b32 v61, v6, v25 offset1:8
	ds_write2_b32 v62, v2, v5 offset1:8
	v_pack_b32_f16 v2, v3, v14
	ds_write_b32 v62, v2 offset:64
	v_lshrrev_b32_e32 v2, 3, v17
	v_fma_f16 v4, v70, -0.5, v4
	v_mul_u32_u24_e32 v2, 24, v2
	v_add_f16_e32 v23, v72, v23
	v_fma_f16 v21, v71, s4, v4
	v_or_b32_e32 v2, v2, v16
	v_fma_f16 v4, v71, s5, v4
	v_lshl_add_u32 v63, v2, 2, v41
	v_pack_b32_f16 v2, v26, v23
	v_pack_b32_f16 v3, v21, v18
	ds_write2_b32 v63, v2, v3 offset1:8
	v_pack_b32_f16 v2, v4, v15
	ds_write_b32 v63, v2 offset:64
	v_mul_lo_u16_sdwa v2, v39, s14 dst_sel:DWORD dst_unused:UNUSED_PAD src0_sel:BYTE_0 src1_sel:DWORD
	v_lshrrev_b16_e32 v64, 12, v2
	v_mul_lo_u16_e32 v2, 24, v64
	v_sub_u16_e32 v65, v39, v2
	v_mov_b32_e32 v2, 3
	v_mul_lo_u16_sdwa v4, v13, s14 dst_sel:DWORD dst_unused:UNUSED_PAD src0_sel:BYTE_0 src1_sel:DWORD
	v_lshlrev_b32_sdwa v3, v2, v65 dst_sel:DWORD dst_unused:UNUSED_PAD src0_sel:DWORD src1_sel:BYTE_0
	v_lshrrev_b16_e32 v66, 12, v4
	s_waitcnt lgkmcnt(0)
	s_barrier
	global_load_dwordx2 v[15:16], v3, s[2:3] offset:88
	v_mul_lo_u16_e32 v3, 24, v66
	v_sub_u16_e32 v74, v13, v3
	v_lshlrev_b32_sdwa v2, v2, v74 dst_sel:DWORD dst_unused:UNUSED_PAD src0_sel:DWORD src1_sel:BYTE_0
	s_mov_b32 s14, 0xaaab
	global_load_dwordx2 v[13:14], v2, s[2:3] offset:88
	v_mul_u32_u24_sdwa v2, v17, s14 dst_sel:DWORD dst_unused:UNUSED_PAD src0_sel:WORD_0 src1_sel:DWORD
	v_lshrrev_b32_e32 v76, 20, v2
	v_mul_lo_u16_e32 v2, 24, v76
	v_sub_u16_e32 v77, v17, v2
	v_lshlrev_b16_e32 v2, 3, v77
	v_mov_b32_e32 v3, s3
	v_add_co_u32_e32 v2, vcc, s2, v2
	v_addc_co_u32_e32 v3, vcc, 0, v3, vcc
	global_load_dwordx2 v[17:18], v[2:3], off offset:88
	ds_read2_b32 v[2:3], v31 offset1:88
	ds_read2_b32 v[4:5], v19 offset0:48 offset1:136
	ds_read2_b32 v[6:7], v0 offset0:16 offset1:104
	;; [unrolled: 1-line block ×3, first 2 shown]
	ds_read_b32 v21, v31 offset:2816
	s_waitcnt lgkmcnt(4)
	v_lshrrev_b32_e32 v26, 16, v2
	s_waitcnt lgkmcnt(3)
	v_lshrrev_b32_e32 v23, 16, v5
	;; [unrolled: 2-line block ×4, first 2 shown]
	v_lshrrev_b32_e32 v28, 16, v20
	s_waitcnt lgkmcnt(0)
	v_lshrrev_b32_e32 v30, 16, v21
	v_lshrrev_b32_e32 v24, 16, v6
	;; [unrolled: 1-line block ×4, first 2 shown]
	s_waitcnt vmcnt(0)
	s_barrier
	v_mul_f16_sdwa v69, v5, v15 dst_sel:DWORD dst_unused:UNUSED_PAD src0_sel:DWORD src1_sel:WORD_1
	v_mul_f16_sdwa v68, v23, v15 dst_sel:DWORD dst_unused:UNUSED_PAD src0_sel:DWORD src1_sel:WORD_1
	v_fma_f16 v69, v23, v15, v69
	v_mul_f16_sdwa v70, v24, v16 dst_sel:DWORD dst_unused:UNUSED_PAD src0_sel:DWORD src1_sel:WORD_1
	v_fma_f16 v5, v5, v15, -v68
	v_mul_f16_sdwa v23, v25, v13 dst_sel:DWORD dst_unused:UNUSED_PAD src0_sel:DWORD src1_sel:WORD_1
	v_fma_f16 v72, v19, v13, -v23
	;; [unrolled: 2-line block ×3, first 2 shown]
	v_fma_f16 v70, v6, v16, -v70
	v_mul_f16_sdwa v6, v6, v16 dst_sel:DWORD dst_unused:UNUSED_PAD src0_sel:DWORD src1_sel:WORD_1
	v_fma_f16 v6, v24, v16, v6
	v_mul_f16_sdwa v19, v19, v13 dst_sel:DWORD dst_unused:UNUSED_PAD src0_sel:DWORD src1_sel:WORD_1
	v_fma_f16 v19, v25, v13, v19
	;; [unrolled: 2-line block ×3, first 2 shown]
	v_mul_f16_sdwa v23, v28, v17 dst_sel:DWORD dst_unused:UNUSED_PAD src0_sel:DWORD src1_sel:WORD_1
	v_fma_f16 v79, v20, v17, -v23
	v_mul_f16_sdwa v23, v30, v18 dst_sel:DWORD dst_unused:UNUSED_PAD src0_sel:DWORD src1_sel:WORD_1
	v_fma_f16 v80, v21, v18, -v23
	v_mul_f16_sdwa v21, v21, v18 dst_sel:DWORD dst_unused:UNUSED_PAD src0_sel:DWORD src1_sel:WORD_1
	v_fma_f16 v81, v30, v18, v21
	v_add_f16_e32 v21, v2, v5
	v_add_f16_e32 v23, v21, v70
	;; [unrolled: 1-line block ×3, first 2 shown]
	v_fma_f16 v2, v21, -0.5, v2
	v_sub_f16_e32 v21, v69, v6
	v_fma_f16 v24, v21, s4, v2
	v_fma_f16 v25, v21, s5, v2
	v_add_f16_e32 v2, v26, v69
	v_add_f16_e32 v68, v2, v6
	;; [unrolled: 1-line block ×3, first 2 shown]
	v_fma_f16 v2, v2, -0.5, v26
	v_sub_f16_e32 v5, v5, v70
	v_fma_f16 v70, v5, s5, v2
	v_fma_f16 v69, v5, s4, v2
	v_add_f16_e32 v2, v3, v72
	v_add_f16_e32 v26, v2, v73
	;; [unrolled: 1-line block ×3, first 2 shown]
	v_mul_f16_sdwa v20, v20, v17 dst_sel:DWORD dst_unused:UNUSED_PAD src0_sel:DWORD src1_sel:WORD_1
	v_fma_f16 v2, v2, -0.5, v3
	v_sub_f16_e32 v3, v19, v7
	v_fma_f16 v20, v28, v17, v20
	v_fma_f16 v27, v3, s4, v2
	v_fma_f16 v28, v3, s5, v2
	v_add_f16_e32 v2, v29, v19
	v_add_f16_e32 v71, v2, v7
	v_add_f16_e32 v2, v19, v7
	v_fma_f16 v2, v2, -0.5, v29
	v_sub_f16_e32 v3, v72, v73
	v_fma_f16 v72, v3, s5, v2
	v_fma_f16 v73, v3, s4, v2
	v_add_f16_e32 v2, v4, v79
	v_add_f16_e32 v29, v2, v80
	v_add_f16_e32 v2, v79, v80
	v_fma_f16 v2, v2, -0.5, v4
	v_sub_f16_e32 v3, v20, v81
	v_fma_f16 v30, v3, s4, v2
	v_fma_f16 v21, v3, s5, v2
	;; [unrolled: 7-line block ×3, first 2 shown]
	v_mul_u32_u24_e32 v2, 0x48, v64
	v_add_u32_sdwa v2, v2, v65 dst_sel:DWORD dst_unused:UNUSED_PAD src0_sel:DWORD src1_sel:BYTE_0
	v_lshl_add_u32 v64, v2, 2, v41
	v_pack_b32_f16 v2, v23, v68
	v_pack_b32_f16 v3, v24, v70
	ds_write2_b32 v64, v2, v3 offset1:24
	v_pack_b32_f16 v2, v25, v69
	ds_write_b32 v64, v2 offset:192
	v_mul_u32_u24_e32 v2, 0x48, v66
	v_add_u32_sdwa v2, v2, v74 dst_sel:DWORD dst_unused:UNUSED_PAD src0_sel:DWORD src1_sel:BYTE_0
	v_lshl_add_u32 v65, v2, 2, v41
	v_pack_b32_f16 v2, v26, v71
	v_pack_b32_f16 v3, v27, v72
	s_movk_i32 s4, 0x48
	ds_write2_b32 v65, v2, v3 offset1:24
	v_pack_b32_f16 v2, v28, v73
	ds_write_b32 v65, v2 offset:192
	v_mad_legacy_u16 v2, v76, s4, v77
	v_lshl_add_u32 v66, v2, 2, v41
	v_pack_b32_f16 v2, v29, v75
	v_pack_b32_f16 v3, v30, v82
	ds_write2_b32 v66, v2, v3 offset1:24
	v_pack_b32_f16 v2, v21, v83
	v_cmp_gt_u16_e32 vcc, s4, v39
	ds_write_b32 v66, v2 offset:192
	s_waitcnt lgkmcnt(0)
	s_barrier
	s_and_saveexec_b64 s[4:5], vcc
	s_cbranch_execz .LBB0_17
; %bb.16:
	ds_read2_b32 v[23:24], v31 offset1:72
	ds_read2_b32 v[25:26], v31 offset0:144 offset1:216
	ds_read2_b32 v[27:28], v1 offset0:32 offset1:104
	;; [unrolled: 1-line block ×4, first 2 shown]
	ds_read_b32 v84, v31 offset:2880
	s_waitcnt lgkmcnt(5)
	v_lshrrev_b32_e32 v68, 16, v23
	v_lshrrev_b32_e32 v70, 16, v24
	s_waitcnt lgkmcnt(4)
	v_lshrrev_b32_e32 v69, 16, v25
	v_lshrrev_b32_e32 v71, 16, v26
	;; [unrolled: 3-line block ×5, first 2 shown]
	s_waitcnt lgkmcnt(0)
	v_lshrrev_b32_e32 v85, 16, v84
.LBB0_17:
	s_or_b64 exec, exec, s[4:5]
	v_add_u32_e32 v0, 0xffffffb8, v39
	v_cndmask_b32_e32 v0, v0, v39, vcc
	v_mul_hi_i32_i24_e32 v1, 40, v0
	v_mul_i32_i24_e32 v0, 40, v0
	v_mov_b32_e32 v2, s3
	v_add_co_u32_e64 v76, s[2:3], s2, v0
	v_addc_co_u32_e64 v77, s[2:3], v2, v1, s[2:3]
	global_load_dwordx4 v[0:3], v[76:77], off offset:280
	global_load_dwordx4 v[4:7], v[76:77], off offset:296
	global_load_dwordx2 v[19:20], v[76:77], off offset:312
	s_movk_i32 s4, 0x3abb
	s_movk_i32 s5, 0x36a6
	s_mov_b32 s14, 0xb08e
	s_mov_b32 s15, 0xb93d
	;; [unrolled: 1-line block ×7, first 2 shown]
	s_movk_i32 s25, 0x3482
	s_movk_i32 s18, 0x3b47
	;; [unrolled: 1-line block ×3, first 2 shown]
	s_mov_b32 s19, 0xb482
	s_movk_i32 s23, 0x3853
	s_waitcnt vmcnt(2)
	v_mul_f16_sdwa v74, v70, v0 dst_sel:DWORD dst_unused:UNUSED_PAD src0_sel:DWORD src1_sel:WORD_1
	v_mul_f16_sdwa v76, v24, v0 dst_sel:DWORD dst_unused:UNUSED_PAD src0_sel:DWORD src1_sel:WORD_1
	;; [unrolled: 1-line block ×6, first 2 shown]
	s_waitcnt vmcnt(1)
	v_mul_f16_sdwa v90, v29, v5 dst_sel:DWORD dst_unused:UNUSED_PAD src0_sel:DWORD src1_sel:WORD_1
	s_waitcnt vmcnt(0)
	v_mul_f16_sdwa v98, v84, v20 dst_sel:DWORD dst_unused:UNUSED_PAD src0_sel:DWORD src1_sel:WORD_1
	v_mul_f16_sdwa v79, v71, v2 dst_sel:DWORD dst_unused:UNUSED_PAD src0_sel:DWORD src1_sel:WORD_1
	;; [unrolled: 1-line block ×11, first 2 shown]
	v_fma_f16 v74, v24, v0, -v74
	v_fma_f16 v24, v70, v0, v76
	v_fma_f16 v76, v25, v1, -v77
	v_fma_f16 v25, v69, v1, v78
	;; [unrolled: 2-line block ×3, first 2 shown]
	v_fma_f16 v72, v75, v5, v90
	v_fma_f16 v75, v85, v20, v98
	v_mul_f16_sdwa v91, v82, v6 dst_sel:DWORD dst_unused:UNUSED_PAD src0_sel:DWORD src1_sel:WORD_1
	v_fma_f16 v77, v26, v2, -v79
	v_fma_f16 v79, v28, v4, -v87
	v_fma_f16 v28, v73, v4, v88
	v_fma_f16 v73, v82, v6, v92
	v_fma_f16 v82, v21, v7, -v93
	v_fma_f16 v21, v83, v7, v94
	v_fma_f16 v83, v22, v19, -v95
	;; [unrolled: 2-line block ×3, first 2 shown]
	v_sub_f16_e32 v113, v24, v75
	v_mul_f16_sdwa v80, v26, v2 dst_sel:DWORD dst_unused:UNUSED_PAD src0_sel:DWORD src1_sel:WORD_1
	v_add_f16_e32 v96, v74, v84
	v_sub_f16_e32 v100, v74, v84
	v_sub_f16_e32 v114, v25, v22
	v_mul_f16_e32 v85, 0xb853, v113
	v_fma_f16 v26, v71, v2, v80
	v_fma_f16 v80, v29, v5, -v89
	v_fma_f16 v81, v30, v6, -v91
	v_add_f16_e32 v117, v24, v75
	v_add_f16_e32 v97, v76, v83
	v_sub_f16_e32 v102, v76, v83
	v_mul_f16_e32 v91, 0xbb47, v100
	v_mul_f16_e32 v86, 0xbb47, v114
	v_fma_f16 v29, v96, s4, v85
	v_add_f16_e32 v120, v25, v22
	v_mul_f16_e32 v94, 0xbbeb, v113
	v_mul_f16_e32 v92, 0xba0c, v102
	v_fma_f16 v69, v117, s5, -v91
	v_fma_f16 v93, v97, s5, v86
	v_add_f16_e32 v29, v23, v29
	v_mul_f16_e32 v98, 0xbbeb, v100
	v_fma_f16 v70, v96, s14, v94
	v_add_f16_e32 v69, v68, v69
	v_add_f16_e32 v29, v93, v29
	v_fma_f16 v93, v120, s15, -v92
	v_mul_f16_e32 v103, 0x3482, v114
	v_mul_f16_e32 v87, 0xb853, v100
	;; [unrolled: 1-line block ×3, first 2 shown]
	v_fma_f16 v71, v117, s14, -v98
	v_add_f16_e32 v70, v23, v70
	v_add_f16_e32 v69, v93, v69
	v_mul_f16_e32 v106, 0x3482, v102
	v_fma_f16 v93, v97, s16, v103
	v_mul_f16_e32 v88, 0xbb47, v102
	v_mul_f16_e32 v90, 0xba0c, v114
	v_fma_f16 v30, v117, s4, -v87
	v_fma_f16 v67, v96, s5, v89
	v_add_f16_e32 v71, v68, v71
	v_add_f16_e32 v70, v93, v70
	v_fma_f16 v93, v120, s16, -v106
	v_sub_f16_e32 v127, v26, v21
	v_fma_f16 v95, v120, s5, -v88
	v_fma_f16 v99, v97, s15, v90
	v_add_f16_e32 v30, v68, v30
	v_add_f16_e32 v67, v23, v67
	;; [unrolled: 1-line block ×4, first 2 shown]
	v_sub_f16_e32 v116, v77, v82
	v_mul_f16_e32 v93, 0xbbeb, v127
	v_add_f16_e32 v30, v95, v30
	v_add_f16_e32 v67, v99, v67
	;; [unrolled: 1-line block ×3, first 2 shown]
	v_mul_f16_e32 v95, 0xbbeb, v116
	v_fma_f16 v99, v110, s14, v93
	v_add_f16_e32 v29, v99, v29
	v_fma_f16 v99, v128, s14, -v95
	v_mul_f16_e32 v101, 0x3482, v127
	v_add_f16_e32 v30, v99, v30
	v_mul_f16_e32 v105, 0x3482, v116
	v_fma_f16 v99, v110, s16, v101
	v_add_f16_e32 v67, v99, v67
	v_fma_f16 v99, v128, s16, -v105
	v_mul_f16_e32 v109, 0x3b47, v127
	v_add_f16_e32 v69, v99, v69
	v_mul_f16_e32 v115, 0x3b47, v116
	v_fma_f16 v99, v110, s5, v109
	v_add_f16_e32 v70, v99, v70
	v_fma_f16 v99, v128, s5, -v115
	v_sub_f16_e32 v131, v27, v73
	v_add_f16_e32 v71, v99, v71
	v_add_f16_e32 v121, v78, v81
	v_sub_f16_e32 v124, v78, v81
	v_mul_f16_e32 v99, 0xba0c, v131
	v_add_f16_e32 v132, v27, v73
	v_mul_f16_e32 v104, 0xba0c, v124
	v_fma_f16 v107, v121, s15, v99
	v_add_f16_e32 v29, v107, v29
	v_fma_f16 v107, v132, s15, -v104
	v_mul_f16_e32 v108, 0x3beb, v131
	v_add_f16_e32 v30, v107, v30
	v_mul_f16_e32 v111, 0x3beb, v124
	v_fma_f16 v107, v121, s14, v108
	v_add_f16_e32 v67, v107, v67
	v_fma_f16 v107, v132, s14, -v111
	v_mul_f16_e32 v118, 0xb853, v131
	v_add_f16_e32 v69, v107, v69
	v_fma_f16 v107, v121, s4, v118
	v_mul_f16_e32 v122, 0xb853, v124
	v_sub_f16_e32 v133, v28, v72
	v_add_f16_e32 v129, v107, v70
	v_fma_f16 v70, v132, s4, -v122
	v_add_f16_e32 v125, v79, v80
	v_mul_f16_e32 v107, 0xb482, v133
	v_sub_f16_e32 v130, v79, v80
	v_add_f16_e32 v71, v70, v71
	v_fma_f16 v70, v125, s16, v107
	v_add_f16_e32 v134, v28, v72
	v_mul_f16_e32 v112, 0xb482, v130
	v_add_f16_e32 v29, v70, v29
	v_fma_f16 v70, v134, s16, -v112
	v_mul_f16_e32 v119, 0x3853, v133
	v_add_f16_e32 v30, v70, v30
	v_fma_f16 v70, v125, s4, v119
	v_mul_f16_e32 v123, 0x3853, v130
	v_add_f16_e32 v67, v70, v67
	v_fma_f16 v70, v134, s4, -v123
	v_mul_f16_e32 v126, 0xba0c, v133
	v_add_f16_e32 v70, v70, v69
	v_fma_f16 v69, v125, s15, v126
	v_add_f16_e32 v69, v69, v129
	v_mul_f16_e32 v129, 0xba0c, v130
	v_fma_f16 v135, v134, s15, -v129
	v_add_f16_e32 v71, v135, v71
	s_and_saveexec_b64 s[2:3], vcc
	s_cbranch_execz .LBB0_19
; %bb.18:
	v_mul_f16_e32 v165, 0xb93d, v117
	s_movk_i32 s26, 0x3a0c
	v_fma_f16 v166, v100, s26, v165
	v_mul_f16_e32 v167, 0xb08e, v120
	v_add_f16_e32 v166, v68, v166
	v_fma_f16 v168, v102, s22, v167
	v_add_f16_e32 v166, v168, v166
	v_mul_f16_e32 v168, 0x3abb, v128
	v_fma_f16 v169, v116, s23, v168
	v_add_f16_e32 v166, v169, v166
	v_mul_f16_e32 v169, 0xbbad, v132
	;; [unrolled: 3-line block ×4, first 2 shown]
	v_fma_f16 v172, v96, s15, v171
	v_mul_f16_e32 v173, 0x3beb, v114
	v_add_f16_e32 v172, v23, v172
	v_fma_f16 v174, v97, s14, v173
	v_add_f16_e32 v172, v174, v172
	v_mul_f16_e32 v174, 0xb853, v127
	v_fma_f16 v175, v110, s4, v174
	v_add_f16_e32 v172, v175, v172
	v_mul_f16_e32 v175, 0xb482, v131
	v_fma_f16 v176, v121, s16, v175
	v_add_f16_e32 v172, v176, v172
	v_mul_f16_e32 v176, 0x3b47, v133
	v_mul_f16_e32 v136, 0x3abb, v117
	v_mul_f16_e32 v138, 0x36a6, v117
	;; [unrolled: 1-line block ×3, first 2 shown]
	v_fma_f16 v177, v125, s5, v176
	v_mul_f16_e32 v117, 0xbbad, v117
	v_mul_f16_e32 v142, 0x36a6, v120
	v_mul_f16_e32 v144, 0xb93d, v120
	v_mul_f16_e32 v146, 0xbbad, v120
	v_add_f16_e32 v172, v177, v172
	v_fma_f16 v177, v100, s25, v117
	v_mul_f16_e32 v120, 0x3abb, v120
	v_mul_f16_e32 v148, 0xb08e, v128
	v_mul_f16_e32 v150, 0xbbad, v128
	v_mul_f16_e32 v152, 0x36a6, v128
	v_add_f16_e32 v177, v68, v177
	;; [unrolled: 6-line block ×4, first 2 shown]
	v_fma_f16 v178, v124, s24, v132
	v_mul_f16_e32 v134, 0xb08e, v134
	v_add_f16_e32 v177, v178, v177
	v_fma_f16 v178, v130, s21, v134
	v_mul_f16_e32 v113, 0xb482, v113
	v_mul_f16_e32 v135, 0x3abb, v96
	;; [unrolled: 1-line block ×4, first 2 shown]
	v_add_f16_e32 v177, v178, v177
	v_fma_f16 v178, v96, s16, v113
	v_mul_f16_e32 v114, 0x3853, v114
	v_fma_f16 v113, v96, s16, -v113
	v_fma_f16 v96, v96, s15, -v171
	v_mul_f16_e32 v141, 0x36a6, v97
	v_mul_f16_e32 v143, 0xb93d, v97
	;; [unrolled: 1-line block ×3, first 2 shown]
	v_fma_f16 v179, v97, s4, v114
	v_fma_f16 v114, v97, s4, -v114
	v_add_f16_e32 v96, v23, v96
	v_fma_f16 v97, v97, s14, -v173
	v_add_f16_e32 v96, v97, v96
	v_fma_f16 v97, v110, s4, -v174
	v_sub_f16_e32 v94, v139, v94
	v_sub_f16_e32 v89, v137, v89
	;; [unrolled: 1-line block ×3, first 2 shown]
	v_add_f16_e32 v178, v23, v178
	v_add_f16_e32 v113, v23, v113
	;; [unrolled: 1-line block ×3, first 2 shown]
	v_fma_f16 v97, v121, s16, -v175
	v_add_f16_e32 v94, v23, v94
	v_add_f16_e32 v89, v23, v89
	;; [unrolled: 1-line block ×6, first 2 shown]
	v_fma_f16 v97, v125, s5, -v176
	v_add_f16_e32 v23, v23, v76
	v_add_f16_e32 v24, v24, v25
	;; [unrolled: 1-line block ×20, first 2 shown]
	v_mul_f16_e32 v147, 0xb08e, v110
	v_mul_f16_e32 v149, 0xbbad, v110
	v_fma_f16 v117, v100, s19, v117
	v_fma_f16 v100, v100, s20, v165
	v_add_f16_e32 v97, v98, v97
	v_add_f16_e32 v98, v129, v164
	;; [unrolled: 1-line block ×4, first 2 shown]
	v_sub_f16_e32 v90, v143, v90
	v_add_f16_e32 v87, v68, v87
	v_add_f16_e32 v88, v88, v142
	v_sub_f16_e32 v86, v141, v86
	v_add_f16_e32 v23, v23, v81
	v_add_f16_e32 v24, v24, v73
	v_mul_f16_e32 v151, 0x36a6, v110
	v_mul_f16_e32 v153, 0xb93d, v121
	;; [unrolled: 1-line block ×3, first 2 shown]
	v_fma_f16 v120, v102, s23, v120
	v_add_f16_e32 v100, v68, v100
	v_fma_f16 v102, v102, s21, v167
	v_add_f16_e32 v97, v98, v97
	v_sub_f16_e32 v98, v145, v103
	v_add_f16_e32 v91, v92, v91
	v_add_f16_e32 v92, v105, v150
	v_add_f16_e32 v89, v90, v89
	v_sub_f16_e32 v90, v149, v101
	v_add_f16_e32 v87, v88, v87
	v_add_f16_e32 v88, v95, v148
	;; [unrolled: 4-line block ×3, first 2 shown]
	v_mul_f16_e32 v157, 0x3abb, v121
	v_mul_f16_e32 v159, 0xbbad, v125
	;; [unrolled: 1-line block ×4, first 2 shown]
	v_add_f16_e32 v117, v68, v117
	v_add_f16_e32 v100, v102, v100
	v_fma_f16 v102, v116, s17, v168
	v_add_f16_e32 v94, v98, v94
	v_sub_f16_e32 v98, v151, v109
	v_add_f16_e32 v91, v92, v91
	v_add_f16_e32 v92, v111, v156
	v_add_f16_e32 v89, v90, v89
	v_sub_f16_e32 v90, v155, v108
	v_add_f16_e32 v87, v88, v87
	v_add_f16_e32 v88, v104, v154
	;; [unrolled: 4-line block ×3, first 2 shown]
	v_mul_f16_e32 v163, 0xb93d, v125
	v_add_f16_e32 v178, v179, v178
	v_fma_f16 v179, v110, s15, v127
	v_mul_f16_e32 v131, 0x3b47, v131
	v_add_f16_e32 v117, v120, v117
	v_fma_f16 v120, v116, s20, v128
	v_add_f16_e32 v113, v114, v113
	v_fma_f16 v114, v110, s15, -v127
	v_add_f16_e32 v100, v102, v100
	v_fma_f16 v102, v124, s19, v169
	v_add_f16_e32 v94, v98, v94
	v_sub_f16_e32 v98, v157, v118
	v_add_f16_e32 v91, v92, v91
	v_add_f16_e32 v92, v123, v162
	v_add_f16_e32 v89, v90, v89
	v_sub_f16_e32 v90, v161, v119
	v_add_f16_e32 v87, v88, v87
	v_add_f16_e32 v88, v112, v160
	;; [unrolled: 4-line block ×3, first 2 shown]
	v_add_f16_e32 v178, v179, v178
	v_fma_f16 v179, v121, s5, v131
	v_mul_f16_e32 v133, 0xbbeb, v133
	v_add_f16_e32 v117, v120, v117
	v_fma_f16 v120, v124, s18, v132
	v_add_f16_e32 v113, v114, v113
	v_fma_f16 v114, v121, s5, -v131
	v_add_f16_e32 v100, v102, v100
	v_fma_f16 v102, v130, s18, v170
	v_add_f16_e32 v94, v98, v94
	v_sub_f16_e32 v98, v163, v126
	v_add_f16_e32 v91, v92, v91
	v_add_f16_e32 v89, v90, v89
	;; [unrolled: 1-line block ×4, first 2 shown]
	v_pack_b32_f16 v21, v23, v21
	v_add_f16_e32 v178, v179, v178
	v_fma_f16 v179, v125, s14, v133
	v_add_f16_e32 v117, v120, v117
	v_fma_f16 v120, v130, s22, v134
	v_add_f16_e32 v113, v114, v113
	v_fma_f16 v114, v125, s14, -v133
	v_add_f16_e32 v100, v102, v100
	v_add_f16_e32 v94, v98, v94
	ds_write_b32 v31, v21
	v_lshl_add_u32 v21, v39, 2, v41
	v_pack_b32_f16 v22, v85, v87
	v_pack_b32_f16 v23, v89, v91
	v_add_f16_e32 v178, v179, v178
	v_add_f16_e32 v117, v120, v117
	;; [unrolled: 1-line block ×3, first 2 shown]
	ds_write2_b32 v21, v22, v23 offset0:72 offset1:144
	v_pack_b32_f16 v22, v94, v97
	v_pack_b32_f16 v23, v96, v100
	v_add_u32_e32 v24, 0x200, v21
	ds_write2_b32 v24, v22, v23 offset0:88 offset1:160
	v_pack_b32_f16 v22, v113, v117
	v_pack_b32_f16 v23, v178, v177
	v_add_u32_e32 v24, 0x400, v21
	s_mov_b32 s4, 0x5040100
	ds_write2_b32 v24, v22, v23 offset0:104 offset1:176
	v_pack_b32_f16 v22, v172, v166
	v_perm_b32 v23, v71, v69, s4
	v_add_u32_e32 v24, 0x600, v21
	ds_write2_b32 v24, v22, v23 offset0:120 offset1:192
	v_perm_b32 v22, v70, v67, s4
	v_perm_b32 v23, v30, v29, s4
	v_add_u32_e32 v21, 0x800, v21
	ds_write2_b32 v21, v22, v23 offset0:136 offset1:208
.LBB0_19:
	s_or_b64 exec, exec, s[2:3]
	s_waitcnt lgkmcnt(0)
	s_barrier
	global_load_dword v28, v[8:9], off offset:3168
	s_add_u32 s2, s12, 0xc60
	s_addc_u32 s3, s13, 0
	global_load_dword v68, v42, s[2:3] offset:1584
	global_load_dword v76, v42, s[2:3] offset:352
	;; [unrolled: 1-line block ×7, first 2 shown]
	ds_read2_b32 v[23:24], v31 offset1:88
	v_add_u32_e32 v22, 0x400, v31
	v_add_u32_e32 v21, 0x200, v31
	;; [unrolled: 1-line block ×3, first 2 shown]
	ds_read2_b32 v[25:26], v22 offset0:140 offset1:228
	ds_read2_b32 v[72:73], v21 offset0:48 offset1:136
	;; [unrolled: 1-line block ×3, first 2 shown]
	s_waitcnt lgkmcnt(3)
	v_lshrrev_b32_e32 v82, 16, v23
	v_lshrrev_b32_e32 v83, 16, v24
	s_waitcnt lgkmcnt(2)
	v_lshrrev_b32_e32 v84, 16, v25
	v_lshrrev_b32_e32 v85, 16, v26
	s_waitcnt lgkmcnt(1)
	v_lshrrev_b32_e32 v86, 16, v72
	s_waitcnt lgkmcnt(0)
	v_lshrrev_b32_e32 v87, 16, v74
	v_lshrrev_b32_e32 v88, 16, v73
	;; [unrolled: 1-line block ×3, first 2 shown]
	s_waitcnt vmcnt(4)
	v_mul_f16_sdwa v92, v85, v77 dst_sel:DWORD dst_unused:UNUSED_PAD src0_sel:DWORD src1_sel:WORD_1
	v_mul_f16_sdwa v90, v82, v28 dst_sel:DWORD dst_unused:UNUSED_PAD src0_sel:DWORD src1_sel:WORD_1
	;; [unrolled: 1-line block ×3, first 2 shown]
	v_fma_f16 v23, v23, v28, -v90
	v_fma_f16 v28, v82, v28, v91
	v_pack_b32_f16 v23, v23, v28
	v_mul_f16_sdwa v28, v84, v68 dst_sel:DWORD dst_unused:UNUSED_PAD src0_sel:DWORD src1_sel:WORD_1
	v_mul_f16_sdwa v82, v25, v68 dst_sel:DWORD dst_unused:UNUSED_PAD src0_sel:DWORD src1_sel:WORD_1
	;; [unrolled: 1-line block ×5, first 2 shown]
	s_waitcnt vmcnt(3)
	v_mul_f16_sdwa v94, v86, v78 dst_sel:DWORD dst_unused:UNUSED_PAD src0_sel:DWORD src1_sel:WORD_1
	v_mul_f16_sdwa v95, v72, v78 dst_sel:DWORD dst_unused:UNUSED_PAD src0_sel:DWORD src1_sel:WORD_1
	s_waitcnt vmcnt(2)
	v_mul_f16_sdwa v96, v87, v79 dst_sel:DWORD dst_unused:UNUSED_PAD src0_sel:DWORD src1_sel:WORD_1
	v_mul_f16_sdwa v97, v74, v79 dst_sel:DWORD dst_unused:UNUSED_PAD src0_sel:DWORD src1_sel:WORD_1
	;; [unrolled: 3-line block ×3, first 2 shown]
	v_mul_f16_sdwa v100, v89, v80 dst_sel:DWORD dst_unused:UNUSED_PAD src0_sel:DWORD src1_sel:WORD_1
	v_mul_f16_sdwa v101, v75, v80 dst_sel:DWORD dst_unused:UNUSED_PAD src0_sel:DWORD src1_sel:WORD_1
	v_fma_f16 v25, v25, v68, -v28
	v_fma_f16 v28, v84, v68, v82
	v_fma_f16 v24, v24, v76, -v90
	v_fma_f16 v68, v83, v76, v91
	;; [unrolled: 2-line block ×7, first 2 shown]
	v_pack_b32_f16 v24, v24, v68
	v_pack_b32_f16 v25, v25, v28
	;; [unrolled: 1-line block ×7, first 2 shown]
	ds_write2_b32 v31, v23, v24 offset1:88
	ds_write2_b32 v22, v25, v26 offset0:140 offset1:228
	ds_write2_b32 v21, v28, v72 offset0:48 offset1:136
	;; [unrolled: 1-line block ×3, first 2 shown]
	s_and_saveexec_b64 s[4:5], s[0:1]
	s_cbranch_execz .LBB0_21
; %bb.20:
	v_mov_b32_e32 v24, s3
	v_add_co_u32_e64 v23, s[2:3], s2, v42
	v_addc_co_u32_e64 v24, s[2:3], 0, v24, s[2:3]
	global_load_dword v25, v[23:24], off offset:1408
	global_load_dword v26, v[23:24], off offset:2992
	ds_read_b32 v23, v31 offset:1408
	ds_read_b32 v24, v31 offset:2992
	s_waitcnt lgkmcnt(1)
	v_lshrrev_b32_e32 v28, 16, v23
	s_waitcnt lgkmcnt(0)
	v_lshrrev_b32_e32 v42, 16, v24
	s_waitcnt vmcnt(1)
	v_mul_f16_sdwa v68, v28, v25 dst_sel:DWORD dst_unused:UNUSED_PAD src0_sel:DWORD src1_sel:WORD_1
	v_mul_f16_sdwa v72, v23, v25 dst_sel:DWORD dst_unused:UNUSED_PAD src0_sel:DWORD src1_sel:WORD_1
	s_waitcnt vmcnt(0)
	v_mul_f16_sdwa v73, v42, v26 dst_sel:DWORD dst_unused:UNUSED_PAD src0_sel:DWORD src1_sel:WORD_1
	v_mul_f16_sdwa v74, v24, v26 dst_sel:DWORD dst_unused:UNUSED_PAD src0_sel:DWORD src1_sel:WORD_1
	v_fma_f16 v23, v23, v25, -v68
	v_fma_f16 v25, v28, v25, v72
	v_fma_f16 v24, v24, v26, -v73
	v_fma_f16 v26, v42, v26, v74
	v_pack_b32_f16 v23, v23, v25
	v_pack_b32_f16 v24, v24, v26
	ds_write_b32 v31, v23 offset:1408
	ds_write_b32 v31, v24 offset:2992
.LBB0_21:
	s_or_b64 exec, exec, s[4:5]
	s_waitcnt lgkmcnt(0)
	s_barrier
	ds_read2_b32 v[23:24], v31 offset1:88
	ds_read2_b32 v[25:26], v22 offset0:140 offset1:228
	ds_read2_b32 v[21:22], v21 offset0:48 offset1:136
	;; [unrolled: 1-line block ×3, first 2 shown]
	s_and_saveexec_b64 s[2:3], s[0:1]
	s_cbranch_execz .LBB0_23
; %bb.22:
	v_lshl_add_u32 v42, v39, 2, v41
	ds_read_b32 v69, v42 offset:1408
	ds_read_b32 v67, v42 offset:2992
	s_waitcnt lgkmcnt(1)
	v_lshrrev_b32_e32 v71, 16, v69
	s_waitcnt lgkmcnt(0)
	v_lshrrev_b32_e32 v70, 16, v67
.LBB0_23:
	s_or_b64 exec, exec, s[2:3]
	s_waitcnt lgkmcnt(2)
	v_pk_add_f16 v72, v23, v25 neg_lo:[0,1] neg_hi:[0,1]
	v_pk_add_f16 v25, v24, v26 neg_lo:[0,1] neg_hi:[0,1]
	v_sub_f16_e32 v70, v71, v70
	s_waitcnt lgkmcnt(0)
	v_pk_add_f16 v26, v21, v27 neg_lo:[0,1] neg_hi:[0,1]
	v_sub_f16_e32 v68, v69, v67
	v_fma_f16 v67, v71, 2.0, -v70
	v_pk_fma_f16 v71, v23, 2.0, v72 op_sel_hi:[1,0,1] neg_lo:[0,0,1] neg_hi:[0,0,1]
	v_pk_fma_f16 v24, v24, 2.0, v25 op_sel_hi:[1,0,1] neg_lo:[0,0,1] neg_hi:[0,0,1]
	v_pk_add_f16 v27, v22, v28 neg_lo:[0,1] neg_hi:[0,1]
	s_barrier
	ds_write_b64 v47, v[71:72]
	ds_write_b64 v48, v[24:25]
	v_pk_fma_f16 v25, v21, 2.0, v26 op_sel_hi:[1,0,1] neg_lo:[0,0,1] neg_hi:[0,0,1]
	v_fma_f16 v42, v69, 2.0, -v68
	ds_write_b64 v49, v[25:26]
	v_pk_fma_f16 v26, v22, 2.0, v27 op_sel_hi:[1,0,1] neg_lo:[0,0,1] neg_hi:[0,0,1]
	ds_write_b64 v50, v[26:27]
	s_and_saveexec_b64 s[2:3], s[0:1]
	s_cbranch_execz .LBB0_25
; %bb.24:
	s_mov_b32 s4, 0x5040100
	v_perm_b32 v22, v70, v68, s4
	v_perm_b32 v21, v67, v42, s4
	ds_write_b64 v46, v[21:22]
.LBB0_25:
	s_or_b64 exec, exec, s[2:3]
	v_add_u32_e32 v21, 0x400, v31
	s_waitcnt lgkmcnt(0)
	s_barrier
	ds_read2_b32 v[27:28], v21 offset0:140 offset1:228
	v_add_u32_e32 v21, 0x200, v31
	v_add_u32_e32 v25, 0x800, v31
	ds_read2_b32 v[23:24], v31 offset1:88
	ds_read2_b32 v[21:22], v21 offset0:48 offset1:136
	ds_read2_b32 v[25:26], v25 offset0:60 offset1:148
	s_and_saveexec_b64 s[2:3], s[0:1]
	s_cbranch_execz .LBB0_27
; %bb.26:
	ds_read_b32 v42, v31 offset:1408
	ds_read_b32 v68, v31 offset:2992
	s_waitcnt lgkmcnt(1)
	v_lshrrev_b32_e32 v67, 16, v42
	s_waitcnt lgkmcnt(0)
	v_lshrrev_b32_e32 v70, 16, v68
.LBB0_27:
	s_or_b64 exec, exec, s[2:3]
	s_waitcnt lgkmcnt(3)
	v_lshrrev_b32_e32 v47, 16, v27
	v_mul_f16_sdwa v73, v45, v47 dst_sel:DWORD dst_unused:UNUSED_PAD src0_sel:WORD_1 src1_sel:DWORD
	v_lshrrev_b32_e32 v49, 16, v28
	v_fma_f16 v73, v45, v27, v73
	v_mul_f16_sdwa v27, v45, v27 dst_sel:DWORD dst_unused:UNUSED_PAD src0_sel:WORD_1 src1_sel:DWORD
	v_fma_f16 v27, v45, v47, -v27
	v_mul_f16_sdwa v47, v45, v49 dst_sel:DWORD dst_unused:UNUSED_PAD src0_sel:WORD_1 src1_sel:DWORD
	s_waitcnt lgkmcnt(0)
	v_lshrrev_b32_e32 v69, 16, v25
	v_fma_f16 v47, v45, v28, v47
	v_mul_f16_sdwa v28, v45, v28 dst_sel:DWORD dst_unused:UNUSED_PAD src0_sel:WORD_1 src1_sel:DWORD
	v_fma_f16 v28, v45, v49, -v28
	v_mul_f16_sdwa v49, v45, v69 dst_sel:DWORD dst_unused:UNUSED_PAD src0_sel:WORD_1 src1_sel:DWORD
	v_lshrrev_b32_e32 v72, 16, v26
	v_fma_f16 v49, v45, v25, v49
	v_mul_f16_sdwa v25, v45, v25 dst_sel:DWORD dst_unused:UNUSED_PAD src0_sel:WORD_1 src1_sel:DWORD
	v_fma_f16 v25, v45, v69, -v25
	v_mul_f16_sdwa v69, v45, v72 dst_sel:DWORD dst_unused:UNUSED_PAD src0_sel:WORD_1 src1_sel:DWORD
	v_fma_f16 v69, v45, v26, v69
	v_mul_f16_sdwa v26, v45, v26 dst_sel:DWORD dst_unused:UNUSED_PAD src0_sel:WORD_1 src1_sel:DWORD
	v_fma_f16 v26, v45, v72, -v26
	v_mul_f16_sdwa v72, v45, v70 dst_sel:DWORD dst_unused:UNUSED_PAD src0_sel:WORD_1 src1_sel:DWORD
	v_lshrrev_b32_e32 v46, 16, v23
	v_fma_f16 v72, v45, v68, v72
	v_mul_f16_sdwa v68, v45, v68 dst_sel:DWORD dst_unused:UNUSED_PAD src0_sel:WORD_1 src1_sel:DWORD
	v_lshrrev_b32_e32 v48, 16, v24
	v_fma_f16 v45, v45, v70, -v68
	v_sub_f16_e32 v68, v23, v73
	v_sub_f16_e32 v27, v46, v27
	v_lshrrev_b32_e32 v50, 16, v21
	v_fma_f16 v23, v23, 2.0, -v68
	v_fma_f16 v70, v46, 2.0, -v27
	v_sub_f16_e32 v73, v24, v47
	v_sub_f16_e32 v28, v48, v28
	v_lshrrev_b32_e32 v71, 16, v22
	v_fma_f16 v24, v24, 2.0, -v73
	v_fma_f16 v48, v48, 2.0, -v28
	v_sub_f16_e32 v49, v21, v49
	v_sub_f16_e32 v25, v50, v25
	v_pack_b32_f16 v23, v23, v70
	v_pack_b32_f16 v27, v68, v27
	v_fma_f16 v21, v21, 2.0, -v49
	v_fma_f16 v50, v50, 2.0, -v25
	v_sub_f16_e32 v69, v22, v69
	v_sub_f16_e32 v26, v71, v26
	s_barrier
	ds_write2_b32 v55, v23, v27 offset1:2
	v_pack_b32_f16 v23, v24, v48
	v_pack_b32_f16 v24, v73, v28
	v_fma_f16 v22, v22, 2.0, -v69
	v_fma_f16 v71, v71, 2.0, -v26
	v_sub_f16_e32 v46, v42, v72
	v_sub_f16_e32 v47, v67, v45
	ds_write2_b32 v54, v23, v24 offset1:2
	v_pack_b32_f16 v21, v21, v50
	v_pack_b32_f16 v23, v49, v25
	v_fma_f16 v42, v42, 2.0, -v46
	v_fma_f16 v45, v67, 2.0, -v47
	ds_write2_b32 v53, v21, v23 offset1:2
	v_pack_b32_f16 v21, v22, v71
	v_pack_b32_f16 v22, v69, v26
	ds_write2_b32 v51, v21, v22 offset1:2
	s_and_saveexec_b64 s[2:3], s[0:1]
	s_cbranch_execz .LBB0_29
; %bb.28:
	s_movk_i32 s4, 0x3fc
	v_and_or_b32 v21, v44, s4, v43
	s_mov_b32 s4, 0x5040100
	v_lshl_add_u32 v21, v21, 2, v41
	v_perm_b32 v22, v45, v42, s4
	v_perm_b32 v23, v47, v46, s4
	ds_write2_b32 v21, v22, v23 offset1:2
.LBB0_29:
	s_or_b64 exec, exec, s[2:3]
	v_add_u32_e32 v21, 0x400, v31
	s_waitcnt lgkmcnt(0)
	s_barrier
	ds_read2_b32 v[27:28], v21 offset0:140 offset1:228
	v_add_u32_e32 v21, 0x200, v31
	v_add_u32_e32 v25, 0x800, v31
	ds_read2_b32 v[23:24], v31 offset1:88
	ds_read2_b32 v[21:22], v21 offset0:48 offset1:136
	ds_read2_b32 v[25:26], v25 offset0:60 offset1:148
	s_and_saveexec_b64 s[2:3], s[0:1]
	s_cbranch_execz .LBB0_31
; %bb.30:
	ds_read_b32 v42, v31 offset:1408
	ds_read_b32 v46, v31 offset:2992
	s_waitcnt lgkmcnt(1)
	v_lshrrev_b32_e32 v45, 16, v42
	s_waitcnt lgkmcnt(0)
	v_lshrrev_b32_e32 v47, 16, v46
.LBB0_31:
	s_or_b64 exec, exec, s[2:3]
	s_waitcnt lgkmcnt(3)
	v_lshrrev_b32_e32 v48, 16, v27
	v_mul_f16_sdwa v67, v56, v48 dst_sel:DWORD dst_unused:UNUSED_PAD src0_sel:WORD_1 src1_sel:DWORD
	v_lshrrev_b32_e32 v50, 16, v28
	v_fma_f16 v67, v56, v27, v67
	v_mul_f16_sdwa v27, v56, v27 dst_sel:DWORD dst_unused:UNUSED_PAD src0_sel:WORD_1 src1_sel:DWORD
	v_fma_f16 v27, v56, v48, -v27
	v_mul_f16_sdwa v48, v56, v50 dst_sel:DWORD dst_unused:UNUSED_PAD src0_sel:WORD_1 src1_sel:DWORD
	s_waitcnt lgkmcnt(0)
	v_lshrrev_b32_e32 v53, 16, v25
	v_fma_f16 v48, v56, v28, v48
	v_mul_f16_sdwa v28, v56, v28 dst_sel:DWORD dst_unused:UNUSED_PAD src0_sel:WORD_1 src1_sel:DWORD
	v_fma_f16 v28, v56, v50, -v28
	v_mul_f16_sdwa v50, v56, v53 dst_sel:DWORD dst_unused:UNUSED_PAD src0_sel:WORD_1 src1_sel:DWORD
	v_lshrrev_b32_e32 v55, 16, v26
	v_fma_f16 v50, v56, v25, v50
	v_mul_f16_sdwa v25, v56, v25 dst_sel:DWORD dst_unused:UNUSED_PAD src0_sel:WORD_1 src1_sel:DWORD
	v_fma_f16 v25, v56, v53, -v25
	v_mul_f16_sdwa v53, v56, v55 dst_sel:DWORD dst_unused:UNUSED_PAD src0_sel:WORD_1 src1_sel:DWORD
	v_fma_f16 v53, v56, v26, v53
	v_mul_f16_sdwa v26, v56, v26 dst_sel:DWORD dst_unused:UNUSED_PAD src0_sel:WORD_1 src1_sel:DWORD
	v_fma_f16 v26, v56, v55, -v26
	v_mul_f16_sdwa v55, v56, v47 dst_sel:DWORD dst_unused:UNUSED_PAD src0_sel:WORD_1 src1_sel:DWORD
	v_lshrrev_b32_e32 v43, 16, v23
	v_fma_f16 v55, v56, v46, v55
	v_mul_f16_sdwa v46, v56, v46 dst_sel:DWORD dst_unused:UNUSED_PAD src0_sel:WORD_1 src1_sel:DWORD
	v_lshrrev_b32_e32 v49, 16, v24
	v_fma_f16 v46, v56, v47, -v46
	v_sub_f16_e32 v47, v23, v67
	v_sub_f16_e32 v27, v43, v27
	v_lshrrev_b32_e32 v51, 16, v21
	v_fma_f16 v23, v23, 2.0, -v47
	v_fma_f16 v43, v43, 2.0, -v27
	v_sub_f16_e32 v48, v24, v48
	v_sub_f16_e32 v28, v49, v28
	v_lshrrev_b32_e32 v54, 16, v22
	v_fma_f16 v56, v24, 2.0, -v48
	v_fma_f16 v49, v49, 2.0, -v28
	v_sub_f16_e32 v50, v21, v50
	v_sub_f16_e32 v25, v51, v25
	v_pack_b32_f16 v23, v23, v43
	v_pack_b32_f16 v27, v47, v27
	v_fma_f16 v21, v21, 2.0, -v50
	v_fma_f16 v51, v51, 2.0, -v25
	v_sub_f16_e32 v53, v22, v53
	v_sub_f16_e32 v26, v54, v26
	s_barrier
	ds_write2_b32 v57, v23, v27 offset1:4
	v_pack_b32_f16 v23, v56, v49
	v_pack_b32_f16 v27, v48, v28
	v_fma_f16 v67, v22, 2.0, -v53
	v_fma_f16 v54, v54, 2.0, -v26
	ds_write2_b32 v58, v23, v27 offset1:4
	v_pack_b32_f16 v21, v21, v51
	v_pack_b32_f16 v23, v50, v25
	v_sub_f16_e32 v22, v42, v55
	v_sub_f16_e32 v24, v45, v46
	ds_write2_b32 v59, v21, v23 offset1:4
	v_pack_b32_f16 v21, v67, v54
	v_pack_b32_f16 v23, v53, v26
	ds_write2_b32 v60, v21, v23 offset1:4
	s_and_saveexec_b64 s[2:3], s[0:1]
	s_cbranch_execz .LBB0_33
; %bb.32:
	s_movk_i32 s4, 0x3f8
	v_fma_f16 v21, v42, 2.0, -v22
	v_fma_f16 v23, v45, 2.0, -v24
	v_and_or_b32 v25, v44, s4, v52
	s_mov_b32 s4, 0x5040100
	v_lshl_add_u32 v25, v25, 2, v41
	v_pack_b32_f16 v21, v21, v23
	v_perm_b32 v23, v24, v22, s4
	ds_write2_b32 v25, v21, v23 offset1:4
.LBB0_33:
	s_or_b64 exec, exec, s[2:3]
	v_add_u32_e32 v21, 0x200, v31
	s_waitcnt lgkmcnt(0)
	s_barrier
	ds_read2_b32 v[42:43], v21 offset0:48 offset1:136
	v_add_u32_e32 v25, 0x800, v31
	ds_read2_b32 v[44:45], v25 offset0:16 offset1:104
	v_add_u32_e32 v26, 0x400, v31
	ds_read2_b32 v[46:47], v26 offset0:96 offset1:184
	s_waitcnt lgkmcnt(2)
	v_lshrrev_b32_e32 v48, 16, v43
	v_mul_f16_sdwa v57, v11, v48 dst_sel:DWORD dst_unused:UNUSED_PAD src0_sel:WORD_1 src1_sel:DWORD
	s_waitcnt lgkmcnt(1)
	v_lshrrev_b32_e32 v49, 16, v44
	v_fma_f16 v57, v11, v43, v57
	v_mul_f16_sdwa v43, v11, v43 dst_sel:DWORD dst_unused:UNUSED_PAD src0_sel:WORD_1 src1_sel:DWORD
	v_fma_f16 v43, v11, v48, -v43
	v_mul_f16_sdwa v48, v12, v49 dst_sel:DWORD dst_unused:UNUSED_PAD src0_sel:WORD_1 src1_sel:DWORD
	s_waitcnt lgkmcnt(0)
	v_lshrrev_b32_e32 v52, 16, v46
	v_fma_f16 v48, v12, v44, v48
	v_mul_f16_sdwa v44, v12, v44 dst_sel:DWORD dst_unused:UNUSED_PAD src0_sel:WORD_1 src1_sel:DWORD
	ds_read_b32 v51, v31 offset:2816
	v_fma_f16 v44, v12, v49, -v44
	v_mul_f16_sdwa v49, v11, v52 dst_sel:DWORD dst_unused:UNUSED_PAD src0_sel:WORD_1 src1_sel:DWORD
	v_lshrrev_b32_e32 v53, 16, v45
	v_fma_f16 v49, v11, v46, v49
	v_mul_f16_sdwa v46, v11, v46 dst_sel:DWORD dst_unused:UNUSED_PAD src0_sel:WORD_1 src1_sel:DWORD
	v_fma_f16 v46, v11, v52, -v46
	v_mul_f16_sdwa v52, v12, v53 dst_sel:DWORD dst_unused:UNUSED_PAD src0_sel:WORD_1 src1_sel:DWORD
	ds_read2_b32 v[27:28], v31 offset1:88
	v_lshrrev_b32_e32 v55, 16, v47
	v_fma_f16 v52, v12, v45, v52
	v_mul_f16_sdwa v45, v12, v45 dst_sel:DWORD dst_unused:UNUSED_PAD src0_sel:WORD_1 src1_sel:DWORD
	v_fma_f16 v45, v12, v53, -v45
	v_mul_f16_sdwa v53, v11, v55 dst_sel:DWORD dst_unused:UNUSED_PAD src0_sel:WORD_1 src1_sel:DWORD
	s_waitcnt lgkmcnt(1)
	v_lshrrev_b32_e32 v56, 16, v51
	v_fma_f16 v53, v11, v47, v53
	v_mul_f16_sdwa v47, v11, v47 dst_sel:DWORD dst_unused:UNUSED_PAD src0_sel:WORD_1 src1_sel:DWORD
	v_fma_f16 v11, v11, v55, -v47
	v_mul_f16_sdwa v47, v12, v56 dst_sel:DWORD dst_unused:UNUSED_PAD src0_sel:WORD_1 src1_sel:DWORD
	v_fma_f16 v47, v12, v51, v47
	v_mul_f16_sdwa v51, v12, v51 dst_sel:DWORD dst_unused:UNUSED_PAD src0_sel:WORD_1 src1_sel:DWORD
	v_add_f16_e32 v55, v57, v48
	s_waitcnt lgkmcnt(0)
	v_lshrrev_b32_e32 v23, 16, v27
	v_fma_f16 v12, v12, v56, -v51
	v_add_f16_e32 v51, v27, v57
	v_fma_f16 v27, v55, -0.5, v27
	v_sub_f16_e32 v55, v43, v44
	s_mov_b32 s2, 0xbaee
	s_movk_i32 s3, 0x3aee
	v_fma_f16 v56, v55, s2, v27
	v_fma_f16 v27, v55, s3, v27
	v_add_f16_e32 v55, v23, v43
	v_add_f16_e32 v43, v43, v44
	;; [unrolled: 1-line block ×3, first 2 shown]
	v_fma_f16 v23, v43, -0.5, v23
	v_sub_f16_e32 v43, v57, v48
	v_add_f16_e32 v48, v49, v52
	v_lshrrev_b32_e32 v50, 16, v28
	v_add_f16_e32 v55, v55, v44
	v_fma_f16 v44, v43, s3, v23
	v_fma_f16 v23, v43, s2, v23
	v_add_f16_e32 v43, v28, v49
	v_fma_f16 v28, v48, -0.5, v28
	v_sub_f16_e32 v48, v46, v45
	v_fma_f16 v57, v48, s2, v28
	v_fma_f16 v28, v48, s3, v28
	v_add_f16_e32 v48, v50, v46
	v_add_f16_e32 v48, v48, v45
	;; [unrolled: 1-line block ×3, first 2 shown]
	v_fma_f16 v45, v45, -0.5, v50
	v_sub_f16_e32 v46, v49, v52
	v_add_f16_e32 v50, v53, v47
	v_lshrrev_b32_e32 v54, 16, v42
	v_fma_f16 v49, v46, s3, v45
	v_fma_f16 v45, v46, s2, v45
	v_add_f16_e32 v46, v42, v53
	v_fma_f16 v42, v50, -0.5, v42
	v_sub_f16_e32 v50, v11, v12
	v_add_f16_e32 v43, v43, v52
	v_fma_f16 v52, v50, s2, v42
	v_fma_f16 v42, v50, s3, v42
	v_add_f16_e32 v50, v54, v11
	v_add_f16_e32 v11, v11, v12
	;; [unrolled: 1-line block ×3, first 2 shown]
	v_fma_f16 v11, v11, -0.5, v54
	v_sub_f16_e32 v12, v53, v47
	v_add_f16_e32 v46, v46, v47
	v_fma_f16 v47, v12, s3, v11
	v_fma_f16 v11, v12, s2, v11
	v_pack_b32_f16 v12, v51, v55
	v_pack_b32_f16 v44, v56, v44
	s_barrier
	ds_write2_b32 v61, v12, v44 offset1:8
	v_pack_b32_f16 v12, v27, v23
	ds_write_b32 v61, v12 offset:64
	v_pack_b32_f16 v12, v43, v48
	v_pack_b32_f16 v23, v57, v49
	ds_write2_b32 v62, v12, v23 offset1:8
	v_pack_b32_f16 v12, v28, v45
	ds_write_b32 v62, v12 offset:64
	v_pack_b32_f16 v12, v46, v50
	v_pack_b32_f16 v23, v52, v47
	;; [unrolled: 1-line block ×3, first 2 shown]
	ds_write2_b32 v63, v12, v23 offset1:8
	ds_write_b32 v63, v11 offset:64
	s_waitcnt lgkmcnt(0)
	s_barrier
	ds_read2_b32 v[27:28], v31 offset1:88
	ds_read2_b32 v[44:45], v21 offset0:48 offset1:136
	ds_read2_b32 v[11:12], v25 offset0:16 offset1:104
	;; [unrolled: 1-line block ×3, first 2 shown]
	ds_read_b32 v48, v31 offset:2816
	s_waitcnt lgkmcnt(4)
	v_lshrrev_b32_e32 v21, 16, v27
	s_waitcnt lgkmcnt(3)
	v_lshrrev_b32_e32 v23, 16, v45
	v_mul_f16_sdwa v54, v15, v23 dst_sel:DWORD dst_unused:UNUSED_PAD src0_sel:WORD_1 src1_sel:DWORD
	s_waitcnt lgkmcnt(2)
	v_lshrrev_b32_e32 v46, 16, v11
	v_fma_f16 v54, v15, v45, v54
	v_mul_f16_sdwa v45, v15, v45 dst_sel:DWORD dst_unused:UNUSED_PAD src0_sel:WORD_1 src1_sel:DWORD
	v_fma_f16 v45, v15, v23, -v45
	v_mul_f16_sdwa v15, v16, v46 dst_sel:DWORD dst_unused:UNUSED_PAD src0_sel:WORD_1 src1_sel:DWORD
	s_waitcnt lgkmcnt(1)
	v_lshrrev_b32_e32 v49, 16, v42
	v_fma_f16 v55, v16, v11, v15
	v_mul_f16_sdwa v11, v16, v11 dst_sel:DWORD dst_unused:UNUSED_PAD src0_sel:WORD_1 src1_sel:DWORD
	v_fma_f16 v16, v16, v46, -v11
	v_mul_f16_sdwa v11, v13, v49 dst_sel:DWORD dst_unused:UNUSED_PAD src0_sel:WORD_1 src1_sel:DWORD
	v_lshrrev_b32_e32 v50, 16, v12
	v_fma_f16 v46, v13, v42, v11
	v_mul_f16_sdwa v11, v13, v42 dst_sel:DWORD dst_unused:UNUSED_PAD src0_sel:WORD_1 src1_sel:DWORD
	v_fma_f16 v49, v13, v49, -v11
	v_mul_f16_sdwa v11, v14, v50 dst_sel:DWORD dst_unused:UNUSED_PAD src0_sel:WORD_1 src1_sel:DWORD
	v_fma_f16 v56, v14, v12, v11
	v_mul_f16_sdwa v11, v14, v12 dst_sel:DWORD dst_unused:UNUSED_PAD src0_sel:WORD_1 src1_sel:DWORD
	v_add_f16_e32 v12, v54, v55
	v_fma_f16 v50, v14, v50, -v11
	v_fma_f16 v13, v12, -0.5, v27
	v_sub_f16_e32 v14, v45, v16
	v_fma_f16 v12, v14, s2, v13
	v_fma_f16 v15, v14, s3, v13
	v_add_f16_e32 v13, v21, v45
	v_lshrrev_b32_e32 v52, 16, v43
	v_add_f16_e32 v23, v13, v16
	v_add_f16_e32 v13, v45, v16
	v_mul_f16_sdwa v11, v17, v52 dst_sel:DWORD dst_unused:UNUSED_PAD src0_sel:WORD_1 src1_sel:DWORD
	v_fma_f16 v13, v13, -0.5, v21
	v_sub_f16_e32 v14, v54, v55
	v_fma_f16 v57, v17, v43, v11
	v_mul_f16_sdwa v11, v17, v43 dst_sel:DWORD dst_unused:UNUSED_PAD src0_sel:WORD_1 src1_sel:DWORD
	v_fma_f16 v45, v14, s3, v13
	v_fma_f16 v43, v14, s2, v13
	v_add_f16_e32 v13, v28, v46
	v_add_f16_e32 v16, v13, v56
	;; [unrolled: 1-line block ×3, first 2 shown]
	v_lshrrev_b32_e32 v47, 16, v28
	s_waitcnt lgkmcnt(0)
	v_lshrrev_b32_e32 v53, 16, v48
	v_fma_f16 v52, v17, v52, -v11
	v_fma_f16 v14, v13, -0.5, v28
	v_sub_f16_e32 v17, v49, v50
	v_mul_f16_sdwa v11, v18, v53 dst_sel:DWORD dst_unused:UNUSED_PAD src0_sel:WORD_1 src1_sel:DWORD
	v_fma_f16 v13, v17, s2, v14
	v_fma_f16 v14, v17, s3, v14
	v_add_f16_e32 v17, v47, v49
	v_fma_f16 v58, v18, v48, v11
	v_mul_f16_sdwa v11, v18, v48 dst_sel:DWORD dst_unused:UNUSED_PAD src0_sel:WORD_1 src1_sel:DWORD
	v_add_f16_e32 v42, v17, v50
	v_add_f16_e32 v17, v49, v50
	v_fma_f16 v48, v18, v53, -v11
	v_fma_f16 v17, v17, -0.5, v47
	v_sub_f16_e32 v18, v46, v56
	v_add_f16_e32 v11, v27, v54
	v_fma_f16 v28, v18, s3, v17
	v_fma_f16 v27, v18, s2, v17
	v_add_f16_e32 v18, v57, v58
	v_lshrrev_b32_e32 v51, 16, v44
	v_add_f16_e32 v17, v44, v57
	v_fma_f16 v21, v18, -0.5, v44
	v_sub_f16_e32 v44, v52, v48
	v_fma_f16 v18, v44, s2, v21
	v_fma_f16 v21, v44, s3, v21
	v_add_f16_e32 v44, v51, v52
	v_add_f16_e32 v46, v52, v48
	;; [unrolled: 1-line block ×4, first 2 shown]
	v_fma_f16 v47, v46, -0.5, v51
	v_sub_f16_e32 v48, v57, v58
	v_fma_f16 v46, v48, s3, v47
	v_fma_f16 v47, v48, s2, v47
	v_pack_b32_f16 v48, v11, v23
	v_pack_b32_f16 v49, v12, v45
	s_barrier
	ds_write2_b32 v64, v48, v49 offset1:24
	v_pack_b32_f16 v48, v15, v43
	ds_write_b32 v64, v48 offset:192
	v_pack_b32_f16 v48, v16, v42
	v_pack_b32_f16 v49, v13, v28
	v_add_f16_e32 v17, v17, v58
	ds_write2_b32 v65, v48, v49 offset1:24
	v_pack_b32_f16 v48, v14, v27
	ds_write_b32 v65, v48 offset:192
	v_pack_b32_f16 v48, v17, v44
	v_pack_b32_f16 v49, v18, v46
	ds_write2_b32 v66, v48, v49 offset1:24
	v_pack_b32_f16 v48, v21, v47
	ds_write_b32 v66, v48 offset:192
	s_waitcnt lgkmcnt(0)
	s_barrier
	s_and_saveexec_b64 s[2:3], vcc
	s_cbranch_execz .LBB0_35
; %bb.34:
	ds_read2_b32 v[11:12], v31 offset1:72
	ds_read2_b32 v[15:16], v31 offset0:144 offset1:216
	ds_read2_b32 v[13:14], v26 offset0:32 offset1:104
	;; [unrolled: 1-line block ×4, first 2 shown]
	ds_read_b32 v29, v31 offset:2880
	s_waitcnt lgkmcnt(5)
	v_lshrrev_b32_e32 v23, 16, v11
	v_lshrrev_b32_e32 v45, 16, v12
	s_waitcnt lgkmcnt(4)
	v_lshrrev_b32_e32 v43, 16, v15
	v_lshrrev_b32_e32 v42, 16, v16
	;; [unrolled: 3-line block ×5, first 2 shown]
	s_waitcnt lgkmcnt(0)
	v_lshrrev_b32_e32 v30, 16, v29
.LBB0_35:
	s_or_b64 exec, exec, s[2:3]
	s_and_saveexec_b64 s[2:3], vcc
	s_cbranch_execz .LBB0_37
; %bb.36:
	v_mul_f16_sdwa v25, v0, v45 dst_sel:DWORD dst_unused:UNUSED_PAD src0_sel:WORD_1 src1_sel:DWORD
	v_mul_f16_sdwa v26, v20, v30 dst_sel:DWORD dst_unused:UNUSED_PAD src0_sel:WORD_1 src1_sel:DWORD
	v_fma_f16 v25, v0, v12, v25
	v_fma_f16 v26, v20, v29, v26
	v_mul_f16_sdwa v29, v20, v29 dst_sel:DWORD dst_unused:UNUSED_PAD src0_sel:WORD_1 src1_sel:DWORD
	v_mul_f16_sdwa v12, v0, v12 dst_sel:DWORD dst_unused:UNUSED_PAD src0_sel:WORD_1 src1_sel:DWORD
	v_fma_f16 v20, v20, v30, -v29
	v_fma_f16 v0, v0, v45, -v12
	v_mul_f16_sdwa v30, v1, v43 dst_sel:DWORD dst_unused:UNUSED_PAD src0_sel:WORD_1 src1_sel:DWORD
	v_mul_f16_sdwa v45, v19, v24 dst_sel:DWORD dst_unused:UNUSED_PAD src0_sel:WORD_1 src1_sel:DWORD
	v_sub_f16_e32 v48, v25, v26
	v_fma_f16 v30, v1, v15, v30
	v_fma_f16 v45, v19, v22, v45
	v_mul_f16_sdwa v22, v19, v22 dst_sel:DWORD dst_unused:UNUSED_PAD src0_sel:WORD_1 src1_sel:DWORD
	v_mul_f16_sdwa v15, v1, v15 dst_sel:DWORD dst_unused:UNUSED_PAD src0_sel:WORD_1 src1_sel:DWORD
	v_mul_f16_e32 v49, 0xbb47, v48
	v_add_f16_e32 v12, v20, v0
	s_movk_i32 s4, 0x36a6
	v_sub_f16_e32 v50, v30, v45
	v_fma_f16 v19, v19, v24, -v22
	v_fma_f16 v1, v1, v43, -v15
	v_fma_f16 v29, v12, s4, v49
	v_mul_f16_e32 v51, 0xba0c, v50
	v_add_f16_e32 v15, v19, v1
	s_mov_b32 s12, 0xb93d
	v_add_f16_e32 v29, v23, v29
	v_fma_f16 v22, v15, s12, v51
	v_add_f16_e32 v22, v22, v29
	v_mul_f16_sdwa v24, v2, v42 dst_sel:DWORD dst_unused:UNUSED_PAD src0_sel:WORD_1 src1_sel:DWORD
	v_mul_f16_sdwa v29, v7, v47 dst_sel:DWORD dst_unused:UNUSED_PAD src0_sel:WORD_1 src1_sel:DWORD
	v_fma_f16 v24, v2, v16, v24
	v_fma_f16 v29, v7, v21, v29
	v_mul_f16_sdwa v21, v7, v21 dst_sel:DWORD dst_unused:UNUSED_PAD src0_sel:WORD_1 src1_sel:DWORD
	v_mul_f16_sdwa v16, v2, v16 dst_sel:DWORD dst_unused:UNUSED_PAD src0_sel:WORD_1 src1_sel:DWORD
	v_sub_f16_e32 v43, v24, v29
	v_fma_f16 v7, v7, v47, -v21
	v_fma_f16 v2, v2, v42, -v16
	v_mul_f16_e32 v52, 0x3482, v43
	v_add_f16_e32 v16, v7, v2
	s_mov_b32 s14, 0xbbad
	v_fma_f16 v21, v16, s14, v52
	v_add_f16_e32 v21, v21, v22
	v_mul_f16_sdwa v22, v3, v28 dst_sel:DWORD dst_unused:UNUSED_PAD src0_sel:WORD_1 src1_sel:DWORD
	v_mul_f16_sdwa v42, v6, v46 dst_sel:DWORD dst_unused:UNUSED_PAD src0_sel:WORD_1 src1_sel:DWORD
	v_fma_f16 v22, v3, v13, v22
	v_fma_f16 v42, v6, v18, v42
	v_mul_f16_sdwa v18, v6, v18 dst_sel:DWORD dst_unused:UNUSED_PAD src0_sel:WORD_1 src1_sel:DWORD
	v_mul_f16_sdwa v13, v3, v13 dst_sel:DWORD dst_unused:UNUSED_PAD src0_sel:WORD_1 src1_sel:DWORD
	v_sub_f16_e32 v47, v22, v42
	v_fma_f16 v6, v6, v46, -v18
	v_fma_f16 v3, v3, v28, -v13
	v_mul_f16_e32 v53, 0x3beb, v47
	v_add_f16_e32 v13, v6, v3
	s_mov_b32 s15, 0xb08e
	v_fma_f16 v18, v13, s15, v53
	v_add_f16_e32 v18, v18, v21
	v_mul_f16_sdwa v21, v4, v27 dst_sel:DWORD dst_unused:UNUSED_PAD src0_sel:WORD_1 src1_sel:DWORD
	v_mul_f16_sdwa v28, v5, v44 dst_sel:DWORD dst_unused:UNUSED_PAD src0_sel:WORD_1 src1_sel:DWORD
	v_fma_f16 v21, v4, v14, v21
	v_fma_f16 v28, v5, v17, v28
	v_mul_f16_sdwa v17, v5, v17 dst_sel:DWORD dst_unused:UNUSED_PAD src0_sel:WORD_1 src1_sel:DWORD
	v_mul_f16_sdwa v14, v4, v14 dst_sel:DWORD dst_unused:UNUSED_PAD src0_sel:WORD_1 src1_sel:DWORD
	v_sub_f16_e32 v46, v21, v28
	v_fma_f16 v5, v5, v44, -v17
	v_fma_f16 v4, v4, v27, -v14
	v_mul_f16_e32 v54, 0x3853, v46
	v_add_f16_e32 v14, v5, v4
	s_movk_i32 s16, 0x3abb
	v_fma_f16 v17, v14, s16, v54
	v_sub_f16_e32 v27, v0, v20
	v_add_f16_e32 v17, v17, v18
	v_add_f16_e32 v18, v26, v25
	v_mul_f16_e32 v44, 0xbb47, v27
	v_sub_f16_e32 v57, v1, v19
	v_fma_f16 v55, v18, s4, -v44
	v_add_f16_e32 v56, v45, v30
	v_mul_f16_e32 v58, 0xba0c, v57
	v_add_f16_e32 v55, v11, v55
	v_fma_f16 v59, v56, s12, -v58
	v_sub_f16_e32 v60, v2, v7
	v_add_f16_e32 v55, v59, v55
	v_add_f16_e32 v59, v29, v24
	v_mul_f16_e32 v61, 0x3482, v60
	v_fma_f16 v62, v59, s14, -v61
	v_sub_f16_e32 v63, v3, v6
	v_add_f16_e32 v55, v62, v55
	v_add_f16_e32 v62, v42, v22
	v_mul_f16_e32 v64, 0x3beb, v63
	;; [unrolled: 5-line block ×3, first 2 shown]
	v_fma_f16 v68, v65, s16, -v67
	v_add_f16_e32 v55, v68, v55
	v_mul_f16_e32 v68, 0xbbeb, v48
	v_fma_f16 v69, v12, s15, v68
	v_mul_f16_e32 v70, 0x3482, v50
	v_add_f16_e32 v69, v23, v69
	v_fma_f16 v71, v15, s14, v70
	v_add_f16_e32 v69, v71, v69
	v_mul_f16_e32 v71, 0x3b47, v43
	v_fma_f16 v72, v16, s4, v71
	v_add_f16_e32 v69, v72, v69
	v_mul_f16_e32 v72, 0xb853, v47
	;; [unrolled: 3-line block ×4, first 2 shown]
	v_fma_f16 v75, v18, s15, -v74
	v_mul_f16_e32 v76, 0x3482, v57
	v_add_f16_e32 v75, v11, v75
	v_fma_f16 v77, v56, s14, -v76
	v_add_f16_e32 v75, v77, v75
	v_mul_f16_e32 v77, 0x3b47, v60
	v_fma_f16 v78, v59, s4, -v77
	v_add_f16_e32 v75, v78, v75
	v_mul_f16_e32 v78, 0xb853, v63
	;; [unrolled: 3-line block ×4, first 2 shown]
	v_fma_f16 v81, v12, s12, v80
	v_mul_f16_e32 v82, 0x3beb, v50
	v_add_f16_e32 v81, v23, v81
	v_fma_f16 v83, v15, s15, v82
	v_add_f16_e32 v81, v83, v81
	v_mul_f16_e32 v83, 0xb853, v43
	v_fma_f16 v84, v16, s16, v83
	v_add_f16_e32 v81, v84, v81
	v_mul_f16_e32 v84, 0xb482, v47
	;; [unrolled: 3-line block ×4, first 2 shown]
	v_fma_f16 v87, v18, s12, -v86
	v_mul_f16_e32 v88, 0x3beb, v57
	v_add_f16_e32 v87, v11, v87
	v_fma_f16 v89, v56, s15, -v88
	v_add_f16_e32 v87, v89, v87
	v_mul_f16_e32 v89, 0xb853, v60
	v_fma_f16 v90, v59, s16, -v89
	v_add_f16_e32 v87, v90, v87
	v_mul_f16_e32 v90, 0xb482, v63
	v_fma_f16 v49, v12, s4, -v49
	v_fma_f16 v91, v62, s14, -v90
	v_add_f16_e32 v49, v23, v49
	v_fma_f16 v51, v15, s12, -v51
	v_add_f16_e32 v87, v91, v87
	v_mul_f16_e32 v91, 0x3b47, v66
	v_add_f16_e32 v49, v51, v49
	v_fma_f16 v51, v16, s14, -v52
	v_fma_f16 v92, v65, s4, -v91
	v_add_f16_e32 v49, v51, v49
	v_fma_f16 v51, v13, s15, -v53
	v_add_f16_e32 v87, v92, v87
	v_mul_f16_e32 v92, 0xb482, v48
	v_add_f16_e32 v49, v51, v49
	v_fma_f16 v51, v14, s16, -v54
	v_fma_f16 v44, v18, s4, v44
	v_fma_f16 v93, v12, s14, v92
	v_mul_f16_e32 v94, 0x3853, v50
	v_add_f16_e32 v49, v51, v49
	v_add_f16_e32 v44, v11, v44
	v_fma_f16 v51, v56, s12, v58
	v_add_f16_e32 v93, v23, v93
	v_fma_f16 v95, v15, s16, v94
	;; [unrolled: 2-line block ×3, first 2 shown]
	v_add_f16_e32 v93, v95, v93
	v_mul_f16_e32 v95, 0xba0c, v43
	v_add_f16_e32 v44, v51, v44
	v_fma_f16 v51, v62, s15, v64
	s_movk_i32 s21, 0x3853
	v_fma_f16 v96, v16, s12, v95
	v_fma_f16 v92, v12, s14, -v92
	v_fma_f16 v80, v12, s12, -v80
	;; [unrolled: 1-line block ×3, first 2 shown]
	v_add_f16_e32 v44, v51, v44
	v_fma_f16 v51, v65, s16, v67
	v_mul_f16_e32 v12, 0x3abb, v12
	s_movk_i32 s22, 0x3b47
	v_add_f16_e32 v93, v96, v93
	v_mul_f16_e32 v96, 0x3b47, v47
	v_add_f16_e32 v92, v23, v92
	v_fma_f16 v94, v15, s16, -v94
	v_add_f16_e32 v80, v23, v80
	v_fma_f16 v82, v15, s15, -v82
	;; [unrolled: 2-line block ×3, first 2 shown]
	v_add_f16_e32 v44, v51, v44
	v_fma_f16 v51, v48, s21, v12
	v_mul_f16_e32 v15, 0x36a6, v15
	s_movk_i32 s18, 0x3beb
	v_fma_f16 v97, v13, s4, v96
	v_add_f16_e32 v92, v94, v92
	v_fma_f16 v94, v16, s12, -v95
	v_add_f16_e32 v80, v82, v80
	v_fma_f16 v82, v16, s16, -v83
	;; [unrolled: 2-line block ×3, first 2 shown]
	v_add_f16_e32 v51, v23, v51
	v_fma_f16 v52, v50, s22, v15
	v_mul_f16_e32 v16, 0xb08e, v16
	v_add_f16_e32 v93, v97, v93
	v_mul_f16_e32 v97, 0xbbeb, v46
	v_add_f16_e32 v92, v94, v92
	v_fma_f16 v94, v13, s4, -v96
	v_add_f16_e32 v80, v82, v80
	v_fma_f16 v82, v13, s14, -v84
	;; [unrolled: 2-line block ×3, first 2 shown]
	v_add_f16_e32 v51, v52, v51
	v_fma_f16 v52, v43, s18, v16
	v_mul_f16_e32 v13, 0xb93d, v13
	s_movk_i32 s18, 0x3a0c
	s_movk_i32 s17, 0x3482
	s_mov_b32 s20, 0xb853
	v_fma_f16 v98, v14, s15, v97
	v_add_f16_e32 v92, v94, v92
	v_fma_f16 v94, v14, s15, -v97
	v_add_f16_e32 v80, v82, v80
	v_fma_f16 v82, v14, s4, -v85
	;; [unrolled: 2-line block ×3, first 2 shown]
	v_add_f16_e32 v51, v52, v51
	v_fma_f16 v52, v47, s18, v13
	v_mul_f16_e32 v14, 0xbbad, v14
	v_add_f16_e32 v25, v11, v25
	v_add_f16_e32 v0, v0, v23
	s_mov_b32 s5, 0xbb47
	v_add_f16_e32 v93, v98, v93
	v_mul_f16_e32 v98, 0xb482, v27
	v_add_f16_e32 v51, v52, v51
	v_fma_f16 v52, v46, s17, v14
	v_mul_f16_e32 v27, 0xb853, v27
	v_add_f16_e32 v25, v30, v25
	v_add_f16_e32 v0, v1, v0
	v_fma_f16 v1, v48, s20, v12
	s_mov_b32 s19, 0xbbeb
	v_add_f16_e32 v51, v52, v51
	v_fma_f16 v52, v18, s16, v27
	v_mul_f16_e32 v53, 0xbb47, v57
	v_add_f16_e32 v24, v24, v25
	v_add_f16_e32 v0, v2, v0
	;; [unrolled: 1-line block ×3, first 2 shown]
	v_fma_f16 v2, v50, s5, v15
	s_mov_b32 s13, 0xba0c
	v_add_f16_e32 v52, v11, v52
	v_fma_f16 v54, v56, s4, v53
	v_add_f16_e32 v22, v22, v24
	v_add_f16_e32 v0, v3, v0
	;; [unrolled: 1-line block ×3, first 2 shown]
	v_fma_f16 v2, v43, s19, v16
	s_mov_b32 s23, 0xb482
	v_fma_f16 v99, v18, s14, -v98
	v_mul_f16_e32 v100, 0x3853, v57
	v_add_f16_e32 v52, v54, v52
	v_mul_f16_e32 v54, 0xbbeb, v60
	v_add_f16_e32 v21, v21, v22
	v_add_f16_e32 v0, v4, v0
	;; [unrolled: 1-line block ×3, first 2 shown]
	v_fma_f16 v2, v47, s13, v13
	v_add_f16_e32 v99, v11, v99
	v_fma_f16 v101, v56, s16, -v100
	v_fma_f16 v57, v59, s15, v54
	v_add_f16_e32 v21, v28, v21
	v_add_f16_e32 v0, v5, v0
	;; [unrolled: 1-line block ×3, first 2 shown]
	v_fma_f16 v2, v46, s23, v14
	v_add_f16_e32 v99, v101, v99
	v_mul_f16_e32 v101, 0xba0c, v60
	v_add_f16_e32 v80, v82, v80
	v_fma_f16 v82, v18, s12, v86
	v_add_f16_e32 v68, v70, v68
	v_fma_f16 v70, v18, s15, v74
	v_add_f16_e32 v52, v57, v52
	v_mul_f16_e32 v57, 0xba0c, v63
	v_add_f16_e32 v21, v42, v21
	v_add_f16_e32 v0, v6, v0
	v_add_f16_e32 v1, v2, v1
	v_fma_f16 v2, v18, s16, -v27
	v_fma_f16 v102, v59, s12, -v101
	v_add_f16_e32 v92, v94, v92
	v_fma_f16 v94, v18, s14, v98
	v_add_f16_e32 v82, v11, v82
	v_fma_f16 v83, v56, s15, v88
	;; [unrolled: 2-line block ×3, first 2 shown]
	v_fma_f16 v58, v62, s12, v57
	v_add_f16_e32 v21, v29, v21
	v_add_f16_e32 v0, v7, v0
	;; [unrolled: 1-line block ×3, first 2 shown]
	v_fma_f16 v3, v56, s4, -v53
	v_add_f16_e32 v99, v102, v99
	v_mul_f16_e32 v102, 0x3b47, v63
	v_add_f16_e32 v94, v11, v94
	v_fma_f16 v95, v56, s16, v100
	v_add_f16_e32 v82, v83, v82
	v_fma_f16 v83, v59, s16, v89
	;; [unrolled: 2-line block ×3, first 2 shown]
	v_add_f16_e32 v52, v58, v52
	v_mul_f16_e32 v58, 0xb482, v66
	v_add_f16_e32 v21, v45, v21
	v_add_f16_e32 v0, v19, v0
	;; [unrolled: 1-line block ×3, first 2 shown]
	v_fma_f16 v3, v59, s15, -v54
	v_fma_f16 v103, v62, s4, -v102
	v_add_f16_e32 v94, v95, v94
	v_fma_f16 v95, v59, s12, v101
	v_add_f16_e32 v82, v83, v82
	v_fma_f16 v83, v62, s14, v90
	v_add_f16_e32 v70, v71, v70
	v_fma_f16 v71, v62, s16, v78
	v_fma_f16 v60, v65, s14, v58
	v_add_f16_e32 v21, v26, v21
	v_add_f16_e32 v0, v20, v0
	;; [unrolled: 1-line block ×3, first 2 shown]
	v_fma_f16 v3, v62, s12, -v57
	v_add_f16_e32 v99, v103, v99
	v_mul_f16_e32 v103, 0xbbeb, v66
	v_add_f16_e32 v94, v95, v94
	v_fma_f16 v95, v62, s4, v102
	v_add_f16_e32 v82, v83, v82
	v_fma_f16 v83, v65, s4, v91
	;; [unrolled: 2-line block ×3, first 2 shown]
	v_add_f16_e32 v52, v60, v52
	v_add_f16_e32 v2, v3, v2
	v_fma_f16 v3, v65, s14, -v58
	v_pack_b32_f16 v0, v21, v0
	v_fma_f16 v104, v65, s15, -v103
	v_add_f16_e32 v94, v95, v94
	v_fma_f16 v95, v65, s15, v103
	v_add_f16_e32 v82, v83, v82
	v_add_f16_e32 v70, v71, v70
	v_add_f16_e32 v2, v3, v2
	ds_write_b32 v31, v0
	v_lshl_add_u32 v0, v39, 2, v41
	v_pack_b32_f16 v3, v52, v51
	v_pack_b32_f16 v4, v44, v49
	v_add_f16_e32 v99, v104, v99
	v_add_f16_e32 v94, v95, v94
	ds_write2_b32 v0, v3, v4 offset0:72 offset1:144
	v_pack_b32_f16 v3, v70, v68
	v_pack_b32_f16 v4, v82, v80
	v_add_u32_e32 v5, 0x200, v0
	ds_write2_b32 v5, v3, v4 offset0:88 offset1:160
	v_pack_b32_f16 v3, v94, v92
	v_pack_b32_f16 v4, v99, v93
	v_add_u32_e32 v5, 0x400, v0
	ds_write2_b32 v5, v3, v4 offset0:104 offset1:176
	v_pack_b32_f16 v3, v87, v81
	v_pack_b32_f16 v4, v75, v69
	v_add_u32_e32 v5, 0x600, v0
	ds_write2_b32 v5, v3, v4 offset0:120 offset1:192
	v_pack_b32_f16 v3, v55, v17
	v_pack_b32_f16 v1, v2, v1
	v_add_u32_e32 v0, 0x800, v0
	ds_write2_b32 v0, v3, v1 offset0:136 offset1:208
.LBB0_37:
	s_or_b64 exec, exec, s[2:3]
	s_waitcnt lgkmcnt(0)
	s_barrier
	ds_read2_b32 v[2:3], v31 offset1:88
	s_mov_b32 s12, 0xa052bf5b
	s_mov_b32 s13, 0x3f54afd6
	v_mad_u64_u32 v[4:5], s[2:3], s10, v10, 0
	s_waitcnt lgkmcnt(0)
	v_lshrrev_b32_e32 v7, 16, v2
	v_mul_f16_sdwa v0, v40, v7 dst_sel:DWORD dst_unused:UNUSED_PAD src0_sel:WORD_1 src1_sel:DWORD
	v_fma_f16 v0, v40, v2, v0
	v_cvt_f32_f16_e32 v0, v0
	s_movk_i32 s10, 0x1ff
	v_mad_u64_u32 v[5:6], s[2:3], s11, v10, v[5:6]
	v_cvt_f64_f32_e32 v[0:1], v0
	s_movk_i32 s11, 0xffe
	v_mul_f16_sdwa v2, v40, v2 dst_sel:DWORD dst_unused:UNUSED_PAD src0_sel:WORD_1 src1_sel:DWORD
	v_fma_f16 v2, v40, v7, -v2
	v_mul_f64 v[0:1], v[0:1], s[12:13]
	v_cvt_f32_f16_e32 v7, v2
	v_mov_b32_e32 v2, 0x7c00
	s_movk_i32 s14, 0x40f
	s_mov_b32 s15, 0x8000
	v_lshlrev_b64 v[4:5], 2, v[4:5]
	v_and_or_b32 v0, v1, s10, v0
	v_cmp_ne_u32_e32 vcc, 0, v0
	v_lshrrev_b32_e32 v6, 8, v1
	v_bfe_u32 v10, v1, 20, 11
	v_cndmask_b32_e64 v0, 0, 1, vcc
	v_sub_u32_e32 v11, 0x3f1, v10
	v_and_or_b32 v0, v6, s11, v0
	v_or_b32_e32 v6, 0x1000, v0
	v_med3_i32 v11, v11, 0, 13
	v_lshrrev_b32_e32 v12, v11, v6
	v_lshlrev_b32_e32 v11, v11, v12
	v_cmp_ne_u32_e32 vcc, v11, v6
	v_cndmask_b32_e64 v6, 0, 1, vcc
	v_add_u32_e32 v10, 0xfffffc10, v10
	v_or_b32_e32 v6, v12, v6
	v_lshl_or_b32 v11, v10, 12, v0
	v_cmp_gt_i32_e32 vcc, 1, v10
	v_cndmask_b32_e32 v6, v11, v6, vcc
	v_and_b32_e32 v11, 7, v6
	v_cmp_lt_i32_e32 vcc, 5, v11
	v_cmp_eq_u32_e64 s[2:3], 3, v11
	v_lshrrev_b32_e32 v6, 2, v6
	s_or_b64 vcc, s[2:3], vcc
	v_addc_co_u32_e32 v11, vcc, 0, v6, vcc
	v_cvt_f64_f32_e32 v[6:7], v7
	v_cmp_gt_i32_e32 vcc, 31, v10
	v_cndmask_b32_e32 v11, v2, v11, vcc
	v_cmp_ne_u32_e32 vcc, 0, v0
	v_mul_f64 v[6:7], v[6:7], s[12:13]
	v_cndmask_b32_e64 v0, 0, 1, vcc
	v_lshl_or_b32 v0, v0, 9, v2
	v_cmp_eq_u32_e32 vcc, s14, v10
	v_cndmask_b32_e32 v0, v11, v0, vcc
	v_lshrrev_b32_e32 v1, 16, v1
	v_and_or_b32 v12, v1, s15, v0
	v_and_b32_e32 v12, 0xffff, v12
	v_and_or_b32 v0, v7, s10, v6
	v_cmp_ne_u32_e32 vcc, 0, v0
	v_cndmask_b32_e64 v0, 0, 1, vcc
	v_lshrrev_b32_e32 v1, 8, v7
	v_bfe_u32 v6, v7, 20, 11
	v_and_or_b32 v0, v1, s11, v0
	v_sub_u32_e32 v10, 0x3f1, v6
	v_or_b32_e32 v1, 0x1000, v0
	v_med3_i32 v10, v10, 0, 13
	v_lshrrev_b32_e32 v11, v10, v1
	v_lshlrev_b32_e32 v10, v10, v11
	v_cmp_ne_u32_e32 vcc, v10, v1
	v_cndmask_b32_e64 v1, 0, 1, vcc
	v_add_u32_e32 v6, 0xfffffc10, v6
	v_or_b32_e32 v1, v11, v1
	v_lshl_or_b32 v10, v6, 12, v0
	v_cmp_gt_i32_e32 vcc, 1, v6
	v_cndmask_b32_e32 v1, v10, v1, vcc
	v_and_b32_e32 v10, 7, v1
	v_cmp_lt_i32_e32 vcc, 5, v10
	v_cmp_eq_u32_e64 s[2:3], 3, v10
	v_lshrrev_b32_e32 v1, 2, v1
	s_or_b64 vcc, s[2:3], vcc
	v_addc_co_u32_e32 v1, vcc, 0, v1, vcc
	v_cmp_gt_i32_e32 vcc, 31, v6
	v_cndmask_b32_e32 v1, v2, v1, vcc
	v_cmp_ne_u32_e32 vcc, 0, v0
	v_cndmask_b32_e64 v0, 0, 1, vcc
	v_cmp_eq_u32_e32 vcc, s14, v6
	v_add_u32_e32 v6, 0x400, v31
	ds_read2_b32 v[10:11], v6 offset0:140 offset1:228
	v_lshl_or_b32 v0, v0, 9, v2
	v_cndmask_b32_e32 v13, v1, v0, vcc
	v_mad_u64_u32 v[0:1], s[2:3], s8, v39, 0
	s_waitcnt lgkmcnt(0)
	v_lshrrev_b32_e32 v15, 16, v10
	v_lshrrev_b32_e32 v14, 16, v7
	v_mad_u64_u32 v[6:7], s[2:3], s9, v39, v[1:2]
	v_mul_f16_sdwa v1, v38, v15 dst_sel:DWORD dst_unused:UNUSED_PAD src0_sel:WORD_1 src1_sel:DWORD
	v_fma_f16 v1, v38, v10, v1
	v_cvt_f32_f16_e32 v7, v1
	v_mov_b32_e32 v1, v6
	v_and_or_b32 v13, v14, s15, v13
	v_lshl_or_b32 v12, v13, 16, v12
	v_cvt_f64_f32_e32 v[6:7], v7
	v_mov_b32_e32 v13, s7
	v_add_co_u32_e32 v4, vcc, s6, v4
	v_mul_f64 v[6:7], v[6:7], s[12:13]
	v_lshlrev_b64 v[0:1], 2, v[0:1]
	v_addc_co_u32_e32 v5, vcc, v13, v5, vcc
	v_add_co_u32_e32 v4, vcc, v4, v0
	v_addc_co_u32_e32 v5, vcc, v5, v1, vcc
	v_and_or_b32 v0, v7, s10, v6
	v_cmp_ne_u32_e32 vcc, 0, v0
	v_cndmask_b32_e64 v0, 0, 1, vcc
	v_lshrrev_b32_e32 v1, 8, v7
	v_and_or_b32 v6, v1, s11, v0
	v_bfe_u32 v1, v7, 20, 11
	global_store_dword v[4:5], v12, off
	v_sub_u32_e32 v12, 0x3f1, v1
	v_or_b32_e32 v0, 0x1000, v6
	v_med3_i32 v12, v12, 0, 13
	v_lshrrev_b32_e32 v13, v12, v0
	v_lshlrev_b32_e32 v12, v12, v13
	v_mul_f16_sdwa v10, v38, v10 dst_sel:DWORD dst_unused:UNUSED_PAD src0_sel:WORD_1 src1_sel:DWORD
	v_cmp_ne_u32_e32 vcc, v12, v0
	v_fma_f16 v10, v38, v15, -v10
	v_cndmask_b32_e64 v0, 0, 1, vcc
	v_add_u32_e32 v12, 0xfffffc10, v1
	v_cvt_f32_f16_e32 v10, v10
	v_or_b32_e32 v0, v13, v0
	v_lshl_or_b32 v1, v12, 12, v6
	v_cmp_gt_i32_e32 vcc, 1, v12
	v_cndmask_b32_e32 v0, v1, v0, vcc
	v_and_b32_e32 v1, 7, v0
	v_cmp_lt_i32_e32 vcc, 5, v1
	v_cmp_eq_u32_e64 s[2:3], 3, v1
	v_lshrrev_b32_e32 v13, 2, v0
	v_cvt_f64_f32_e32 v[0:1], v10
	s_or_b64 vcc, s[2:3], vcc
	v_addc_co_u32_e32 v10, vcc, 0, v13, vcc
	v_mul_f64 v[0:1], v[0:1], s[12:13]
	v_cmp_gt_i32_e32 vcc, 31, v12
	v_cndmask_b32_e32 v10, v2, v10, vcc
	v_cmp_ne_u32_e32 vcc, 0, v6
	v_cndmask_b32_e64 v6, 0, 1, vcc
	v_lshl_or_b32 v6, v6, 9, v2
	v_cmp_eq_u32_e32 vcc, s14, v12
	v_cndmask_b32_e32 v6, v10, v6, vcc
	v_and_or_b32 v0, v1, s10, v0
	v_lshrrev_b32_e32 v7, 16, v7
	v_cmp_ne_u32_e32 vcc, 0, v0
	v_and_or_b32 v6, v7, s15, v6
	v_cndmask_b32_e64 v0, 0, 1, vcc
	v_lshrrev_b32_e32 v7, 8, v1
	v_bfe_u32 v10, v1, 20, 11
	v_and_or_b32 v0, v7, s11, v0
	v_sub_u32_e32 v12, 0x3f1, v10
	v_or_b32_e32 v7, 0x1000, v0
	v_med3_i32 v12, v12, 0, 13
	v_lshrrev_b32_e32 v13, v12, v7
	v_lshlrev_b32_e32 v12, v12, v13
	v_cmp_ne_u32_e32 vcc, v12, v7
	v_cndmask_b32_e64 v7, 0, 1, vcc
	v_add_u32_e32 v10, 0xfffffc10, v10
	v_or_b32_e32 v7, v13, v7
	v_lshl_or_b32 v12, v10, 12, v0
	v_cmp_gt_i32_e32 vcc, 1, v10
	v_cndmask_b32_e32 v7, v12, v7, vcc
	v_and_b32_e32 v12, 7, v7
	v_cmp_lt_i32_e32 vcc, 5, v12
	v_cmp_eq_u32_e64 s[2:3], 3, v12
	v_lshrrev_b32_e32 v7, 2, v7
	s_or_b64 vcc, s[2:3], vcc
	v_addc_co_u32_e32 v7, vcc, 0, v7, vcc
	v_cmp_gt_i32_e32 vcc, 31, v10
	v_cndmask_b32_e32 v7, v2, v7, vcc
	v_cmp_ne_u32_e32 vcc, 0, v0
	v_cndmask_b32_e64 v0, 0, 1, vcc
	v_lshl_or_b32 v0, v0, 9, v2
	v_cmp_eq_u32_e32 vcc, s14, v10
	v_cndmask_b32_e32 v0, v7, v0, vcc
	v_lshrrev_b32_e32 v1, 16, v1
	v_lshrrev_b32_e32 v10, 16, v3
	v_and_or_b32 v7, v1, s15, v0
	v_mul_f16_sdwa v0, v37, v10 dst_sel:DWORD dst_unused:UNUSED_PAD src0_sel:WORD_1 src1_sel:DWORD
	v_fma_f16 v0, v37, v3, v0
	v_cvt_f32_f16_e32 v0, v0
	v_and_b32_e32 v6, 0xffff, v6
	v_lshl_or_b32 v12, v7, 16, v6
	s_mul_i32 s2, s9, 0x18c
	v_cvt_f64_f32_e32 v[0:1], v0
	s_mul_hi_u32 s3, s8, 0x18c
	s_add_i32 s3, s3, s2
	s_mul_i32 s2, s8, 0x18c
	v_mul_f64 v[6:7], v[0:1], s[12:13]
	s_lshl_b64 s[6:7], s[2:3], 2
	v_mov_b32_e32 v1, s7
	v_add_co_u32_e32 v4, vcc, s6, v4
	v_addc_co_u32_e32 v5, vcc, v5, v1, vcc
	global_store_dword v[4:5], v12, off
	v_and_or_b32 v0, v7, s10, v6
	v_cmp_ne_u32_e32 vcc, 0, v0
	v_cndmask_b32_e64 v0, 0, 1, vcc
	v_lshrrev_b32_e32 v6, 8, v7
	v_bfe_u32 v12, v7, 20, 11
	v_and_or_b32 v0, v6, s11, v0
	v_sub_u32_e32 v13, 0x3f1, v12
	v_or_b32_e32 v6, 0x1000, v0
	v_med3_i32 v13, v13, 0, 13
	v_lshrrev_b32_e32 v14, v13, v6
	v_lshlrev_b32_e32 v13, v13, v14
	v_cmp_ne_u32_e32 vcc, v13, v6
	v_mul_f16_sdwa v3, v37, v3 dst_sel:DWORD dst_unused:UNUSED_PAD src0_sel:WORD_1 src1_sel:DWORD
	v_cndmask_b32_e64 v6, 0, 1, vcc
	v_fma_f16 v3, v37, v10, -v3
	v_or_b32_e32 v6, v14, v6
	v_add_u32_e32 v14, 0xfffffc10, v12
	v_cvt_f32_f16_e32 v3, v3
	v_lshl_or_b32 v12, v14, 12, v0
	v_cmp_gt_i32_e32 vcc, 1, v14
	v_cndmask_b32_e32 v6, v12, v6, vcc
	v_and_b32_e32 v12, 7, v6
	v_cmp_lt_i32_e32 vcc, 5, v12
	v_cmp_eq_u32_e64 s[2:3], 3, v12
	v_cvt_f64_f32_e32 v[12:13], v3
	v_lshrrev_b32_e32 v6, 2, v6
	s_or_b64 vcc, s[2:3], vcc
	v_addc_co_u32_e32 v3, vcc, 0, v6, vcc
	v_mul_f64 v[12:13], v[12:13], s[12:13]
	v_cmp_gt_i32_e32 vcc, 31, v14
	v_cndmask_b32_e32 v3, v2, v3, vcc
	v_cmp_ne_u32_e32 vcc, 0, v0
	v_cndmask_b32_e64 v0, 0, 1, vcc
	v_lshl_or_b32 v0, v0, 9, v2
	v_cmp_eq_u32_e32 vcc, s14, v14
	v_cndmask_b32_e32 v0, v3, v0, vcc
	v_lshrrev_b32_e32 v3, 16, v7
	v_and_or_b32 v0, v3, s15, v0
	v_and_or_b32 v3, v13, s10, v12
	v_cmp_ne_u32_e32 vcc, 0, v3
	v_cndmask_b32_e64 v3, 0, 1, vcc
	v_lshrrev_b32_e32 v6, 8, v13
	v_bfe_u32 v7, v13, 20, 11
	v_and_or_b32 v3, v6, s11, v3
	v_sub_u32_e32 v10, 0x3f1, v7
	v_or_b32_e32 v6, 0x1000, v3
	v_med3_i32 v10, v10, 0, 13
	v_lshrrev_b32_e32 v12, v10, v6
	v_lshlrev_b32_e32 v10, v10, v12
	v_cmp_ne_u32_e32 vcc, v10, v6
	v_cndmask_b32_e64 v6, 0, 1, vcc
	v_add_u32_e32 v7, 0xfffffc10, v7
	v_or_b32_e32 v6, v12, v6
	v_lshl_or_b32 v10, v7, 12, v3
	v_cmp_gt_i32_e32 vcc, 1, v7
	v_cndmask_b32_e32 v6, v10, v6, vcc
	v_and_b32_e32 v10, 7, v6
	v_cmp_lt_i32_e32 vcc, 5, v10
	v_cmp_eq_u32_e64 s[2:3], 3, v10
	v_lshrrev_b32_e32 v6, 2, v6
	s_or_b64 vcc, s[2:3], vcc
	v_addc_co_u32_e32 v6, vcc, 0, v6, vcc
	v_cmp_gt_i32_e32 vcc, 31, v7
	v_cndmask_b32_e32 v6, v2, v6, vcc
	v_cmp_ne_u32_e32 vcc, 0, v3
	v_cndmask_b32_e64 v3, 0, 1, vcc
	v_lshl_or_b32 v3, v3, 9, v2
	v_cmp_eq_u32_e32 vcc, s14, v7
	v_cndmask_b32_e32 v3, v6, v3, vcc
	v_lshrrev_b32_e32 v6, 16, v13
	v_lshrrev_b32_e32 v10, 16, v11
	v_and_or_b32 v3, v6, s15, v3
	v_mul_f16_sdwa v6, v36, v10 dst_sel:DWORD dst_unused:UNUSED_PAD src0_sel:WORD_1 src1_sel:DWORD
	v_fma_f16 v6, v36, v11, v6
	v_cvt_f32_f16_e32 v6, v6
	s_mul_hi_u32 s3, s8, 0xfffffecc
	s_mul_i32 s2, s9, 0xfffffecc
	s_sub_i32 s3, s3, s8
	v_cvt_f64_f32_e32 v[6:7], v6
	s_add_i32 s3, s3, s2
	s_mul_i32 s2, s8, 0xfffffecc
	v_and_b32_e32 v0, 0xffff, v0
	v_mul_f64 v[6:7], v[6:7], s[12:13]
	s_lshl_b64 s[4:5], s[2:3], 2
	v_lshl_or_b32 v0, v3, 16, v0
	v_mov_b32_e32 v16, s5
	v_add_co_u32_e32 v3, vcc, s4, v4
	v_addc_co_u32_e32 v4, vcc, v5, v16, vcc
	global_store_dword v[3:4], v0, off
	v_and_or_b32 v0, v7, s10, v6
	v_cmp_ne_u32_e32 vcc, 0, v0
	v_cndmask_b32_e64 v0, 0, 1, vcc
	v_lshrrev_b32_e32 v5, 8, v7
	v_bfe_u32 v6, v7, 20, 11
	v_and_or_b32 v0, v5, s11, v0
	v_sub_u32_e32 v12, 0x3f1, v6
	v_or_b32_e32 v5, 0x1000, v0
	v_med3_i32 v12, v12, 0, 13
	v_lshrrev_b32_e32 v13, v12, v5
	v_lshlrev_b32_e32 v12, v12, v13
	v_mul_f16_sdwa v11, v36, v11 dst_sel:DWORD dst_unused:UNUSED_PAD src0_sel:WORD_1 src1_sel:DWORD
	v_cmp_ne_u32_e32 vcc, v12, v5
	v_fma_f16 v10, v36, v10, -v11
	v_cndmask_b32_e64 v5, 0, 1, vcc
	v_add_u32_e32 v12, 0xfffffc10, v6
	v_cvt_f32_f16_e32 v10, v10
	v_or_b32_e32 v5, v13, v5
	v_lshl_or_b32 v6, v12, 12, v0
	v_cmp_gt_i32_e32 vcc, 1, v12
	v_cndmask_b32_e32 v5, v6, v5, vcc
	v_and_b32_e32 v6, 7, v5
	v_cmp_lt_i32_e32 vcc, 5, v6
	v_cmp_eq_u32_e64 s[2:3], 3, v6
	v_lshrrev_b32_e32 v11, 2, v5
	v_cvt_f64_f32_e32 v[5:6], v10
	s_or_b64 vcc, s[2:3], vcc
	v_addc_co_u32_e32 v10, vcc, 0, v11, vcc
	v_mul_f64 v[5:6], v[5:6], s[12:13]
	v_cmp_gt_i32_e32 vcc, 31, v12
	v_cndmask_b32_e32 v10, v2, v10, vcc
	v_cmp_ne_u32_e32 vcc, 0, v0
	v_cndmask_b32_e64 v0, 0, 1, vcc
	v_lshl_or_b32 v0, v0, 9, v2
	v_cmp_eq_u32_e32 vcc, s14, v12
	v_cndmask_b32_e32 v0, v10, v0, vcc
	v_and_or_b32 v5, v6, s10, v5
	v_lshrrev_b32_e32 v7, 16, v7
	v_cmp_ne_u32_e32 vcc, 0, v5
	v_and_or_b32 v0, v7, s15, v0
	v_cndmask_b32_e64 v5, 0, 1, vcc
	v_lshrrev_b32_e32 v7, 8, v6
	v_bfe_u32 v10, v6, 20, 11
	v_and_or_b32 v5, v7, s11, v5
	v_sub_u32_e32 v11, 0x3f1, v10
	v_or_b32_e32 v7, 0x1000, v5
	v_med3_i32 v11, v11, 0, 13
	v_lshrrev_b32_e32 v12, v11, v7
	v_lshlrev_b32_e32 v11, v11, v12
	v_cmp_ne_u32_e32 vcc, v11, v7
	v_cndmask_b32_e64 v7, 0, 1, vcc
	v_add_u32_e32 v14, 0xfffffc10, v10
	v_or_b32_e32 v7, v12, v7
	v_lshl_or_b32 v10, v14, 12, v5
	v_cmp_gt_i32_e32 vcc, 1, v14
	v_cndmask_b32_e32 v7, v10, v7, vcc
	v_and_b32_e32 v10, 7, v7
	v_cmp_lt_i32_e32 vcc, 5, v10
	v_cmp_eq_u32_e64 s[2:3], 3, v10
	v_add_u32_e32 v10, 0x200, v31
	ds_read2_b32 v[10:11], v10 offset0:48 offset1:136
	v_lshrrev_b32_e32 v7, 2, v7
	s_or_b64 vcc, s[2:3], vcc
	v_addc_co_u32_e32 v7, vcc, 0, v7, vcc
	s_waitcnt lgkmcnt(0)
	v_lshrrev_b32_e32 v15, 16, v10
	v_mul_f16_sdwa v12, v35, v15 dst_sel:DWORD dst_unused:UNUSED_PAD src0_sel:WORD_1 src1_sel:DWORD
	v_fma_f16 v12, v35, v10, v12
	v_cvt_f32_f16_e32 v12, v12
	v_cmp_gt_i32_e32 vcc, 31, v14
	v_cndmask_b32_e32 v7, v2, v7, vcc
	v_cmp_ne_u32_e32 vcc, 0, v5
	v_cvt_f64_f32_e32 v[12:13], v12
	v_cndmask_b32_e64 v5, 0, 1, vcc
	v_lshl_or_b32 v5, v5, 9, v2
	v_cmp_eq_u32_e32 vcc, s14, v14
	v_cndmask_b32_e32 v5, v7, v5, vcc
	v_lshrrev_b32_e32 v6, 16, v6
	v_and_or_b32 v7, v6, s15, v5
	v_mul_f64 v[5:6], v[12:13], s[12:13]
	v_and_b32_e32 v0, 0xffff, v0
	v_add_co_u32_e32 v3, vcc, s6, v3
	v_lshl_or_b32 v0, v7, 16, v0
	v_addc_co_u32_e32 v4, vcc, v4, v1, vcc
	global_store_dword v[3:4], v0, off
	v_and_or_b32 v0, v6, s10, v5
	v_cmp_ne_u32_e32 vcc, 0, v0
	v_cndmask_b32_e64 v0, 0, 1, vcc
	v_lshrrev_b32_e32 v5, 8, v6
	v_bfe_u32 v7, v6, 20, 11
	v_and_or_b32 v0, v5, s11, v0
	v_sub_u32_e32 v12, 0x3f1, v7
	v_or_b32_e32 v5, 0x1000, v0
	v_med3_i32 v12, v12, 0, 13
	v_lshrrev_b32_e32 v13, v12, v5
	v_lshlrev_b32_e32 v12, v12, v13
	v_mul_f16_sdwa v10, v35, v10 dst_sel:DWORD dst_unused:UNUSED_PAD src0_sel:WORD_1 src1_sel:DWORD
	v_cmp_ne_u32_e32 vcc, v12, v5
	v_fma_f16 v10, v35, v15, -v10
	v_cndmask_b32_e64 v5, 0, 1, vcc
	v_add_u32_e32 v7, 0xfffffc10, v7
	v_cvt_f32_f16_e32 v10, v10
	v_or_b32_e32 v5, v13, v5
	v_lshl_or_b32 v12, v7, 12, v0
	v_cmp_gt_i32_e32 vcc, 1, v7
	v_cndmask_b32_e32 v5, v12, v5, vcc
	v_and_b32_e32 v12, 7, v5
	v_cmp_lt_i32_e32 vcc, 5, v12
	v_cmp_eq_u32_e64 s[2:3], 3, v12
	v_cvt_f64_f32_e32 v[12:13], v10
	v_lshrrev_b32_e32 v5, 2, v5
	s_or_b64 vcc, s[2:3], vcc
	v_addc_co_u32_e32 v5, vcc, 0, v5, vcc
	v_mul_f64 v[12:13], v[12:13], s[12:13]
	v_cmp_gt_i32_e32 vcc, 31, v7
	v_cndmask_b32_e32 v5, v2, v5, vcc
	v_cmp_ne_u32_e32 vcc, 0, v0
	v_cndmask_b32_e64 v0, 0, 1, vcc
	v_lshl_or_b32 v0, v0, 9, v2
	v_cmp_eq_u32_e32 vcc, s14, v7
	v_cndmask_b32_e32 v0, v5, v0, vcc
	v_lshrrev_b32_e32 v5, 16, v6
	v_and_or_b32 v0, v5, s15, v0
	v_and_or_b32 v5, v13, s10, v12
	v_cmp_ne_u32_e32 vcc, 0, v5
	v_cndmask_b32_e64 v5, 0, 1, vcc
	v_lshrrev_b32_e32 v6, 8, v13
	v_and_or_b32 v7, v6, s11, v5
	v_bfe_u32 v6, v13, 20, 11
	v_sub_u32_e32 v10, 0x3f1, v6
	v_or_b32_e32 v5, 0x1000, v7
	v_med3_i32 v10, v10, 0, 13
	v_lshrrev_b32_e32 v12, v10, v5
	v_lshlrev_b32_e32 v10, v10, v12
	v_cmp_ne_u32_e32 vcc, v10, v5
	v_cndmask_b32_e64 v5, 0, 1, vcc
	v_add_u32_e32 v10, 0xfffffc10, v6
	v_or_b32_e32 v5, v12, v5
	v_lshl_or_b32 v6, v10, 12, v7
	v_cmp_gt_i32_e32 vcc, 1, v10
	v_cndmask_b32_e32 v5, v6, v5, vcc
	v_and_b32_e32 v6, 7, v5
	v_lshrrev_b32_e32 v12, 2, v5
	v_add_u32_e32 v5, 0x800, v31
	v_cmp_lt_i32_e32 vcc, 5, v6
	v_cmp_eq_u32_e64 s[2:3], 3, v6
	ds_read2_b32 v[5:6], v5 offset0:60 offset1:148
	s_or_b64 vcc, s[2:3], vcc
	v_addc_co_u32_e32 v12, vcc, 0, v12, vcc
	v_cmp_gt_i32_e32 vcc, 31, v10
	s_waitcnt lgkmcnt(0)
	v_lshrrev_b32_e32 v17, 16, v5
	v_mul_f16_sdwa v14, v34, v17 dst_sel:DWORD dst_unused:UNUSED_PAD src0_sel:WORD_1 src1_sel:DWORD
	v_fma_f16 v14, v34, v5, v14
	v_cvt_f32_f16_e32 v14, v14
	v_cndmask_b32_e32 v12, v2, v12, vcc
	v_cmp_ne_u32_e32 vcc, 0, v7
	v_cndmask_b32_e64 v7, 0, 1, vcc
	v_cvt_f64_f32_e32 v[14:15], v14
	v_lshl_or_b32 v7, v7, 9, v2
	v_cmp_eq_u32_e32 vcc, s14, v10
	v_cndmask_b32_e32 v7, v12, v7, vcc
	v_lshrrev_b32_e32 v10, 16, v13
	v_mul_f64 v[12:13], v[14:15], s[12:13]
	v_and_or_b32 v7, v10, s15, v7
	v_and_b32_e32 v0, 0xffff, v0
	v_add_co_u32_e32 v3, vcc, s4, v3
	v_lshl_or_b32 v0, v7, 16, v0
	v_addc_co_u32_e32 v4, vcc, v4, v16, vcc
	global_store_dword v[3:4], v0, off
	v_and_or_b32 v0, v13, s10, v12
	v_cmp_ne_u32_e32 vcc, 0, v0
	v_cndmask_b32_e64 v0, 0, 1, vcc
	v_lshrrev_b32_e32 v7, 8, v13
	v_bfe_u32 v10, v13, 20, 11
	v_and_or_b32 v0, v7, s11, v0
	v_sub_u32_e32 v12, 0x3f1, v10
	v_mul_f16_sdwa v5, v34, v5 dst_sel:DWORD dst_unused:UNUSED_PAD src0_sel:WORD_1 src1_sel:DWORD
	v_or_b32_e32 v7, 0x1000, v0
	v_med3_i32 v12, v12, 0, 13
	v_fma_f16 v5, v34, v17, -v5
	v_lshrrev_b32_e32 v14, v12, v7
	v_cvt_f32_f16_e32 v5, v5
	v_lshlrev_b32_e32 v12, v12, v14
	v_cmp_ne_u32_e32 vcc, v12, v7
	v_cndmask_b32_e64 v7, 0, 1, vcc
	v_or_b32_e32 v7, v14, v7
	v_add_u32_e32 v10, 0xfffffc10, v10
	v_cvt_f64_f32_e32 v[14:15], v5
	v_lshl_or_b32 v12, v10, 12, v0
	v_cmp_gt_i32_e32 vcc, 1, v10
	v_cndmask_b32_e32 v7, v12, v7, vcc
	v_and_b32_e32 v12, 7, v7
	v_cmp_lt_i32_e32 vcc, 5, v12
	v_cmp_eq_u32_e64 s[2:3], 3, v12
	v_mul_f64 v[14:15], v[14:15], s[12:13]
	v_lshrrev_b32_e32 v7, 2, v7
	s_or_b64 vcc, s[2:3], vcc
	v_addc_co_u32_e32 v5, vcc, 0, v7, vcc
	v_cmp_gt_i32_e32 vcc, 31, v10
	v_cndmask_b32_e32 v5, v2, v5, vcc
	v_cmp_ne_u32_e32 vcc, 0, v0
	v_cndmask_b32_e64 v0, 0, 1, vcc
	v_lshl_or_b32 v0, v0, 9, v2
	v_cmp_eq_u32_e32 vcc, s14, v10
	v_cndmask_b32_e32 v0, v5, v0, vcc
	v_lshrrev_b32_e32 v5, 16, v13
	v_and_or_b32 v0, v5, s15, v0
	v_and_or_b32 v5, v15, s10, v14
	v_cmp_ne_u32_e32 vcc, 0, v5
	v_cndmask_b32_e64 v5, 0, 1, vcc
	v_lshrrev_b32_e32 v7, 8, v15
	v_bfe_u32 v10, v15, 20, 11
	v_and_or_b32 v5, v7, s11, v5
	v_sub_u32_e32 v12, 0x3f1, v10
	v_or_b32_e32 v7, 0x1000, v5
	v_med3_i32 v12, v12, 0, 13
	v_lshrrev_b32_e32 v13, v12, v7
	v_lshlrev_b32_e32 v12, v12, v13
	v_cmp_ne_u32_e32 vcc, v12, v7
	v_cndmask_b32_e64 v7, 0, 1, vcc
	v_add_u32_e32 v10, 0xfffffc10, v10
	v_or_b32_e32 v7, v13, v7
	v_lshl_or_b32 v12, v10, 12, v5
	v_cmp_gt_i32_e32 vcc, 1, v10
	v_cndmask_b32_e32 v7, v12, v7, vcc
	v_and_b32_e32 v12, 7, v7
	v_lshrrev_b32_e32 v14, 16, v11
	v_cmp_lt_i32_e32 vcc, 5, v12
	v_cmp_eq_u32_e64 s[2:3], 3, v12
	v_mul_f16_sdwa v12, v33, v14 dst_sel:DWORD dst_unused:UNUSED_PAD src0_sel:WORD_1 src1_sel:DWORD
	v_fma_f16 v12, v33, v11, v12
	v_cvt_f32_f16_e32 v12, v12
	v_lshrrev_b32_e32 v7, 2, v7
	s_or_b64 vcc, s[2:3], vcc
	v_addc_co_u32_e32 v7, vcc, 0, v7, vcc
	v_cvt_f64_f32_e32 v[12:13], v12
	v_cmp_gt_i32_e32 vcc, 31, v10
	v_cndmask_b32_e32 v7, v2, v7, vcc
	v_cmp_ne_u32_e32 vcc, 0, v5
	v_mul_f64 v[12:13], v[12:13], s[12:13]
	v_cndmask_b32_e64 v5, 0, 1, vcc
	v_lshl_or_b32 v5, v5, 9, v2
	v_cmp_eq_u32_e32 vcc, s14, v10
	v_cndmask_b32_e32 v5, v7, v5, vcc
	v_lshrrev_b32_e32 v7, 16, v15
	v_and_or_b32 v5, v7, s15, v5
	v_and_b32_e32 v0, 0xffff, v0
	v_add_co_u32_e32 v3, vcc, s6, v3
	v_lshl_or_b32 v0, v5, 16, v0
	v_addc_co_u32_e32 v4, vcc, v4, v1, vcc
	global_store_dword v[3:4], v0, off
	v_and_or_b32 v0, v13, s10, v12
	v_cmp_ne_u32_e32 vcc, 0, v0
	v_cndmask_b32_e64 v0, 0, 1, vcc
	v_lshrrev_b32_e32 v5, 8, v13
	v_bfe_u32 v7, v13, 20, 11
	v_and_or_b32 v0, v5, s11, v0
	v_sub_u32_e32 v10, 0x3f1, v7
	v_or_b32_e32 v5, 0x1000, v0
	v_med3_i32 v10, v10, 0, 13
	v_lshrrev_b32_e32 v12, v10, v5
	v_lshlrev_b32_e32 v10, v10, v12
	v_mul_f16_sdwa v11, v33, v11 dst_sel:DWORD dst_unused:UNUSED_PAD src0_sel:WORD_1 src1_sel:DWORD
	v_cmp_ne_u32_e32 vcc, v10, v5
	v_fma_f16 v11, v33, v14, -v11
	v_cndmask_b32_e64 v5, 0, 1, vcc
	v_add_u32_e32 v7, 0xfffffc10, v7
	v_cvt_f32_f16_e32 v11, v11
	v_or_b32_e32 v5, v12, v5
	v_lshl_or_b32 v10, v7, 12, v0
	v_cmp_gt_i32_e32 vcc, 1, v7
	v_cndmask_b32_e32 v5, v10, v5, vcc
	v_and_b32_e32 v10, 7, v5
	v_cmp_lt_i32_e32 vcc, 5, v10
	v_cmp_eq_u32_e64 s[2:3], 3, v10
	v_cvt_f64_f32_e32 v[10:11], v11
	v_lshrrev_b32_e32 v5, 2, v5
	s_or_b64 vcc, s[2:3], vcc
	v_addc_co_u32_e32 v5, vcc, 0, v5, vcc
	v_mul_f64 v[10:11], v[10:11], s[12:13]
	v_cmp_gt_i32_e32 vcc, 31, v7
	v_cndmask_b32_e32 v5, v2, v5, vcc
	v_cmp_ne_u32_e32 vcc, 0, v0
	v_cndmask_b32_e64 v0, 0, 1, vcc
	v_lshl_or_b32 v0, v0, 9, v2
	v_cmp_eq_u32_e32 vcc, s14, v7
	v_cndmask_b32_e32 v0, v5, v0, vcc
	v_lshrrev_b32_e32 v5, 16, v13
	v_and_or_b32 v0, v5, s15, v0
	v_and_or_b32 v5, v11, s10, v10
	v_cmp_ne_u32_e32 vcc, 0, v5
	v_cndmask_b32_e64 v5, 0, 1, vcc
	v_lshrrev_b32_e32 v7, 8, v11
	v_bfe_u32 v10, v11, 20, 11
	v_and_or_b32 v5, v7, s11, v5
	v_sub_u32_e32 v12, 0x3f1, v10
	v_or_b32_e32 v7, 0x1000, v5
	v_med3_i32 v12, v12, 0, 13
	v_lshrrev_b32_e32 v13, v12, v7
	v_lshlrev_b32_e32 v12, v12, v13
	v_cmp_ne_u32_e32 vcc, v12, v7
	v_cndmask_b32_e64 v7, 0, 1, vcc
	v_add_u32_e32 v10, 0xfffffc10, v10
	v_or_b32_e32 v7, v13, v7
	v_lshl_or_b32 v12, v10, 12, v5
	v_cmp_gt_i32_e32 vcc, 1, v10
	v_cndmask_b32_e32 v7, v12, v7, vcc
	v_and_b32_e32 v12, 7, v7
	v_lshrrev_b32_e32 v14, 16, v6
	v_cmp_lt_i32_e32 vcc, 5, v12
	v_cmp_eq_u32_e64 s[2:3], 3, v12
	v_mul_f16_sdwa v12, v32, v14 dst_sel:DWORD dst_unused:UNUSED_PAD src0_sel:WORD_1 src1_sel:DWORD
	v_fma_f16 v12, v32, v6, v12
	v_cvt_f32_f16_e32 v12, v12
	v_lshrrev_b32_e32 v7, 2, v7
	s_or_b64 vcc, s[2:3], vcc
	v_addc_co_u32_e32 v7, vcc, 0, v7, vcc
	v_cmp_gt_i32_e32 vcc, 31, v10
	v_cvt_f64_f32_e32 v[12:13], v12
	v_cndmask_b32_e32 v7, v2, v7, vcc
	v_cmp_ne_u32_e32 vcc, 0, v5
	v_cndmask_b32_e64 v5, 0, 1, vcc
	v_lshl_or_b32 v5, v5, 9, v2
	v_cmp_eq_u32_e32 vcc, s14, v10
	v_cndmask_b32_e32 v5, v7, v5, vcc
	v_lshrrev_b32_e32 v7, 16, v11
	v_mul_f64 v[10:11], v[12:13], s[12:13]
	v_and_or_b32 v5, v7, s15, v5
	v_and_b32_e32 v0, 0xffff, v0
	v_add_co_u32_e32 v3, vcc, s4, v3
	v_lshl_or_b32 v0, v5, 16, v0
	v_addc_co_u32_e32 v4, vcc, v4, v16, vcc
	global_store_dword v[3:4], v0, off
	v_and_or_b32 v0, v11, s10, v10
	v_cmp_ne_u32_e32 vcc, 0, v0
	v_cndmask_b32_e64 v0, 0, 1, vcc
	v_lshrrev_b32_e32 v5, 8, v11
	v_bfe_u32 v7, v11, 20, 11
	v_and_or_b32 v0, v5, s11, v0
	v_sub_u32_e32 v10, 0x3f1, v7
	v_or_b32_e32 v5, 0x1000, v0
	v_med3_i32 v10, v10, 0, 13
	v_lshrrev_b32_e32 v12, v10, v5
	v_lshlrev_b32_e32 v10, v10, v12
	v_mul_f16_sdwa v6, v32, v6 dst_sel:DWORD dst_unused:UNUSED_PAD src0_sel:WORD_1 src1_sel:DWORD
	v_cmp_ne_u32_e32 vcc, v10, v5
	v_fma_f16 v6, v32, v14, -v6
	v_cndmask_b32_e64 v5, 0, 1, vcc
	v_add_u32_e32 v7, 0xfffffc10, v7
	v_cvt_f32_f16_e32 v6, v6
	v_or_b32_e32 v5, v12, v5
	v_lshl_or_b32 v10, v7, 12, v0
	v_cmp_gt_i32_e32 vcc, 1, v7
	v_cndmask_b32_e32 v5, v10, v5, vcc
	v_and_b32_e32 v10, 7, v5
	v_cmp_lt_i32_e32 vcc, 5, v10
	v_cmp_eq_u32_e64 s[2:3], 3, v10
	v_lshrrev_b32_e32 v10, 2, v5
	v_cvt_f64_f32_e32 v[5:6], v6
	s_or_b64 vcc, s[2:3], vcc
	v_addc_co_u32_e32 v10, vcc, 0, v10, vcc
	v_mul_f64 v[5:6], v[5:6], s[12:13]
	v_cmp_gt_i32_e32 vcc, 31, v7
	v_cndmask_b32_e32 v10, v2, v10, vcc
	v_cmp_ne_u32_e32 vcc, 0, v0
	v_cndmask_b32_e64 v0, 0, 1, vcc
	v_lshl_or_b32 v0, v0, 9, v2
	v_cmp_eq_u32_e32 vcc, s14, v7
	v_cndmask_b32_e32 v0, v10, v0, vcc
	v_and_or_b32 v5, v6, s10, v5
	v_lshrrev_b32_e32 v7, 16, v11
	v_cmp_ne_u32_e32 vcc, 0, v5
	v_and_or_b32 v0, v7, s15, v0
	v_cndmask_b32_e64 v5, 0, 1, vcc
	v_lshrrev_b32_e32 v7, 8, v6
	v_bfe_u32 v10, v6, 20, 11
	v_and_or_b32 v5, v7, s11, v5
	v_sub_u32_e32 v11, 0x3f1, v10
	v_or_b32_e32 v7, 0x1000, v5
	v_med3_i32 v11, v11, 0, 13
	v_lshrrev_b32_e32 v12, v11, v7
	v_lshlrev_b32_e32 v11, v11, v12
	v_cmp_ne_u32_e32 vcc, v11, v7
	v_cndmask_b32_e64 v7, 0, 1, vcc
	v_add_u32_e32 v10, 0xfffffc10, v10
	v_or_b32_e32 v7, v12, v7
	v_lshl_or_b32 v11, v10, 12, v5
	v_cmp_gt_i32_e32 vcc, 1, v10
	v_cndmask_b32_e32 v7, v11, v7, vcc
	v_and_b32_e32 v11, 7, v7
	v_cmp_lt_i32_e32 vcc, 5, v11
	v_cmp_eq_u32_e64 s[2:3], 3, v11
	v_lshrrev_b32_e32 v7, 2, v7
	s_or_b64 vcc, s[2:3], vcc
	v_addc_co_u32_e32 v7, vcc, 0, v7, vcc
	v_cmp_gt_i32_e32 vcc, 31, v10
	v_cndmask_b32_e32 v7, v2, v7, vcc
	v_cmp_ne_u32_e32 vcc, 0, v5
	v_cndmask_b32_e64 v5, 0, 1, vcc
	v_lshl_or_b32 v5, v5, 9, v2
	v_cmp_eq_u32_e32 vcc, s14, v10
	v_cndmask_b32_e32 v5, v7, v5, vcc
	v_lshrrev_b32_e32 v6, 16, v6
	v_and_or_b32 v5, v6, s15, v5
	v_and_b32_e32 v0, 0xffff, v0
	v_lshl_or_b32 v5, v5, 16, v0
	v_add_co_u32_e32 v0, vcc, s6, v3
	v_addc_co_u32_e32 v1, vcc, v4, v1, vcc
	global_store_dword v[0:1], v5, off
	s_and_b64 exec, exec, s[0:1]
	s_cbranch_execz .LBB0_39
; %bb.38:
	global_load_dword v3, v[8:9], off offset:1408
	global_load_dword v10, v[8:9], off offset:2992
	ds_read_b32 v4, v31 offset:1408
	ds_read_b32 v9, v31 offset:2992
	v_mov_b32_e32 v12, s5
	v_add_co_u32_e32 v0, vcc, s4, v0
	s_waitcnt lgkmcnt(1)
	v_lshrrev_b32_e32 v5, 16, v4
	s_waitcnt lgkmcnt(0)
	v_lshrrev_b32_e32 v11, 16, v9
	v_addc_co_u32_e32 v1, vcc, v1, v12, vcc
	s_waitcnt vmcnt(1)
	v_mul_f16_sdwa v6, v5, v3 dst_sel:DWORD dst_unused:UNUSED_PAD src0_sel:DWORD src1_sel:WORD_1
	v_mul_f16_sdwa v7, v4, v3 dst_sel:DWORD dst_unused:UNUSED_PAD src0_sel:DWORD src1_sel:WORD_1
	v_fma_f16 v4, v4, v3, v6
	s_waitcnt vmcnt(0)
	v_mul_f16_sdwa v8, v11, v10 dst_sel:DWORD dst_unused:UNUSED_PAD src0_sel:DWORD src1_sel:WORD_1
	v_cvt_f32_f16_e32 v4, v4
	v_fma_f16 v3, v3, v5, -v7
	v_cvt_f32_f16_e32 v5, v3
	v_fma_f16 v6, v9, v10, v8
	v_cvt_f32_f16_e32 v7, v6
	v_cvt_f64_f32_e32 v[3:4], v4
	v_cvt_f64_f32_e32 v[5:6], v5
	;; [unrolled: 1-line block ×3, first 2 shown]
	v_mul_f64 v[3:4], v[3:4], s[12:13]
	v_mul_f64 v[5:6], v[5:6], s[12:13]
	;; [unrolled: 1-line block ×3, first 2 shown]
	v_and_or_b32 v3, v4, s10, v3
	v_and_or_b32 v5, v6, s10, v5
	v_cmp_ne_u32_e32 vcc, 0, v3
	v_lshrrev_b32_e32 v12, 8, v4
	v_bfe_u32 v13, v4, 20, 11
	v_and_or_b32 v7, v8, s10, v7
	v_cndmask_b32_e64 v3, 0, 1, vcc
	v_cmp_ne_u32_e32 vcc, 0, v5
	v_lshrrev_b32_e32 v14, 8, v6
	v_bfe_u32 v15, v6, 20, 11
	v_bfe_u32 v17, v8, 20, 11
	v_sub_u32_e32 v18, 0x3f1, v13
	v_cndmask_b32_e64 v5, 0, 1, vcc
	v_cmp_ne_u32_e32 vcc, 0, v7
	v_and_or_b32 v3, v12, s11, v3
	v_lshrrev_b32_e32 v16, 8, v8
	v_sub_u32_e32 v19, 0x3f1, v15
	v_cndmask_b32_e64 v7, 0, 1, vcc
	v_sub_u32_e32 v20, 0x3f1, v17
	v_med3_i32 v12, v18, 0, 13
	v_and_or_b32 v5, v14, s11, v5
	v_or_b32_e32 v18, 0x1000, v3
	v_add_u32_e32 v13, 0xfffffc10, v13
	v_med3_i32 v14, v19, 0, 13
	v_and_or_b32 v7, v16, s11, v7
	v_med3_i32 v16, v20, 0, 13
	v_cmp_ne_u32_e32 vcc, 0, v3
	v_or_b32_e32 v20, 0x1000, v5
	v_lshrrev_b32_e32 v24, v12, v18
	v_add_u32_e32 v15, 0xfffffc10, v15
	v_lshl_or_b32 v19, v13, 12, v3
	v_cndmask_b32_e64 v3, 0, 1, vcc
	v_cmp_ne_u32_e32 vcc, 0, v5
	v_or_b32_e32 v22, 0x1000, v7
	v_lshrrev_b32_e32 v25, v14, v20
	v_lshlrev_b32_e32 v12, v12, v24
	v_lshl_or_b32 v21, v15, 12, v5
	v_cndmask_b32_e64 v5, 0, 1, vcc
	v_lshrrev_b32_e32 v26, v16, v22
	v_lshlrev_b32_e32 v14, v14, v25
	v_cmp_ne_u32_e32 vcc, v12, v18
	v_lshlrev_b32_e32 v16, v16, v26
	v_cndmask_b32_e64 v12, 0, 1, vcc
	v_cmp_ne_u32_e32 vcc, v14, v20
	v_cndmask_b32_e64 v14, 0, 1, vcc
	v_cmp_ne_u32_e32 vcc, v16, v22
	v_cndmask_b32_e64 v16, 0, 1, vcc
	v_or_b32_e32 v12, v24, v12
	v_cmp_gt_i32_e32 vcc, 1, v13
	v_add_u32_e32 v17, 0xfffffc10, v17
	v_or_b32_e32 v14, v25, v14
	v_cndmask_b32_e32 v12, v19, v12, vcc
	v_cmp_gt_i32_e32 vcc, 1, v15
	v_lshl_or_b32 v23, v17, 12, v7
	v_or_b32_e32 v16, v26, v16
	v_cndmask_b32_e32 v14, v21, v14, vcc
	v_cmp_gt_i32_e32 vcc, 1, v17
	v_and_b32_e32 v18, 7, v12
	v_cndmask_b32_e32 v16, v23, v16, vcc
	v_cmp_lt_i32_e32 vcc, 5, v18
	v_cmp_eq_u32_e64 s[0:1], 3, v18
	v_lshrrev_b32_e32 v12, 2, v12
	v_and_b32_e32 v19, 7, v14
	s_or_b64 vcc, s[0:1], vcc
	v_cmp_lt_i32_e64 s[2:3], 5, v19
	v_cmp_eq_u32_e64 s[4:5], 3, v19
	v_addc_co_u32_e32 v12, vcc, 0, v12, vcc
	v_lshrrev_b32_e32 v14, 2, v14
	s_or_b64 vcc, s[4:5], s[2:3]
	v_addc_co_u32_e32 v14, vcc, 0, v14, vcc
	v_cmp_gt_i32_e32 vcc, 31, v13
	v_cndmask_b32_e32 v12, v2, v12, vcc
	v_cmp_gt_i32_e32 vcc, 31, v15
	v_lshl_or_b32 v3, v3, 9, v2
	v_cndmask_b32_e32 v14, v2, v14, vcc
	v_cmp_eq_u32_e32 vcc, s14, v13
	v_lshrrev_b32_e32 v4, 16, v4
	v_lshl_or_b32 v5, v5, 9, v2
	v_cndmask_b32_e32 v3, v12, v3, vcc
	v_cmp_eq_u32_e32 vcc, s14, v15
	v_lshrrev_b32_e32 v6, 16, v6
	v_cndmask_b32_e32 v5, v14, v5, vcc
	v_and_or_b32 v3, v4, s15, v3
	v_and_or_b32 v4, v6, s15, v5
	v_and_b32_e32 v3, 0xffff, v3
	v_lshl_or_b32 v3, v4, 16, v3
	global_store_dword v[0:1], v3, off
	v_mul_f16_sdwa v3, v9, v10 dst_sel:DWORD dst_unused:UNUSED_PAD src0_sel:DWORD src1_sel:WORD_1
	v_fma_f16 v3, v10, v11, -v3
	v_cvt_f32_f16_e32 v3, v3
	v_and_b32_e32 v20, 7, v16
	v_cmp_lt_i32_e32 vcc, 5, v20
	v_cmp_eq_u32_e64 s[0:1], 3, v20
	v_cvt_f64_f32_e32 v[3:4], v3
	v_lshrrev_b32_e32 v5, 2, v16
	s_or_b64 vcc, s[0:1], vcc
	v_addc_co_u32_e32 v5, vcc, 0, v5, vcc
	v_mul_f64 v[3:4], v[3:4], s[12:13]
	v_cmp_gt_i32_e32 vcc, 31, v17
	v_cndmask_b32_e32 v5, v2, v5, vcc
	v_cmp_ne_u32_e32 vcc, 0, v7
	v_cndmask_b32_e64 v6, 0, 1, vcc
	v_lshl_or_b32 v6, v6, 9, v2
	v_cmp_eq_u32_e32 vcc, s14, v17
	v_cndmask_b32_e32 v5, v5, v6, vcc
	v_and_or_b32 v3, v4, s10, v3
	v_lshrrev_b32_e32 v6, 16, v8
	v_cmp_ne_u32_e32 vcc, 0, v3
	v_and_or_b32 v5, v6, s15, v5
	v_cndmask_b32_e64 v3, 0, 1, vcc
	v_lshrrev_b32_e32 v6, 8, v4
	v_bfe_u32 v7, v4, 20, 11
	v_and_or_b32 v3, v6, s11, v3
	v_sub_u32_e32 v8, 0x3f1, v7
	v_or_b32_e32 v6, 0x1000, v3
	v_med3_i32 v8, v8, 0, 13
	v_lshrrev_b32_e32 v9, v8, v6
	v_lshlrev_b32_e32 v8, v8, v9
	v_cmp_ne_u32_e32 vcc, v8, v6
	v_cndmask_b32_e64 v6, 0, 1, vcc
	v_add_u32_e32 v7, 0xfffffc10, v7
	v_or_b32_e32 v6, v9, v6
	v_lshl_or_b32 v8, v7, 12, v3
	v_cmp_gt_i32_e32 vcc, 1, v7
	v_cndmask_b32_e32 v6, v8, v6, vcc
	v_and_b32_e32 v8, 7, v6
	v_cmp_lt_i32_e32 vcc, 5, v8
	v_cmp_eq_u32_e64 s[0:1], 3, v8
	v_lshrrev_b32_e32 v6, 2, v6
	s_or_b64 vcc, s[0:1], vcc
	v_addc_co_u32_e32 v6, vcc, 0, v6, vcc
	v_cmp_gt_i32_e32 vcc, 31, v7
	v_cndmask_b32_e32 v6, v2, v6, vcc
	v_cmp_ne_u32_e32 vcc, 0, v3
	v_cndmask_b32_e64 v3, 0, 1, vcc
	v_lshl_or_b32 v2, v3, 9, v2
	v_cmp_eq_u32_e32 vcc, s14, v7
	v_cndmask_b32_e32 v2, v6, v2, vcc
	v_lshrrev_b32_e32 v3, 16, v4
	v_and_or_b32 v2, v3, s15, v2
	v_and_b32_e32 v3, 0xffff, v5
	v_lshl_or_b32 v2, v2, 16, v3
	v_mov_b32_e32 v3, s7
	v_add_co_u32_e32 v0, vcc, s6, v0
	v_addc_co_u32_e32 v1, vcc, v1, v3, vcc
	global_store_dword v[0:1], v2, off
.LBB0_39:
	s_endpgm
	.section	.rodata,"a",@progbits
	.p2align	6, 0x0
	.amdhsa_kernel bluestein_single_back_len792_dim1_half_op_CI_CI
		.amdhsa_group_segment_fixed_size 6336
		.amdhsa_private_segment_fixed_size 0
		.amdhsa_kernarg_size 104
		.amdhsa_user_sgpr_count 6
		.amdhsa_user_sgpr_private_segment_buffer 1
		.amdhsa_user_sgpr_dispatch_ptr 0
		.amdhsa_user_sgpr_queue_ptr 0
		.amdhsa_user_sgpr_kernarg_segment_ptr 1
		.amdhsa_user_sgpr_dispatch_id 0
		.amdhsa_user_sgpr_flat_scratch_init 0
		.amdhsa_user_sgpr_private_segment_size 0
		.amdhsa_uses_dynamic_stack 0
		.amdhsa_system_sgpr_private_segment_wavefront_offset 0
		.amdhsa_system_sgpr_workgroup_id_x 1
		.amdhsa_system_sgpr_workgroup_id_y 0
		.amdhsa_system_sgpr_workgroup_id_z 0
		.amdhsa_system_sgpr_workgroup_info 0
		.amdhsa_system_vgpr_workitem_id 0
		.amdhsa_next_free_vgpr 180
		.amdhsa_next_free_sgpr 27
		.amdhsa_reserve_vcc 1
		.amdhsa_reserve_flat_scratch 0
		.amdhsa_float_round_mode_32 0
		.amdhsa_float_round_mode_16_64 0
		.amdhsa_float_denorm_mode_32 3
		.amdhsa_float_denorm_mode_16_64 3
		.amdhsa_dx10_clamp 1
		.amdhsa_ieee_mode 1
		.amdhsa_fp16_overflow 0
		.amdhsa_exception_fp_ieee_invalid_op 0
		.amdhsa_exception_fp_denorm_src 0
		.amdhsa_exception_fp_ieee_div_zero 0
		.amdhsa_exception_fp_ieee_overflow 0
		.amdhsa_exception_fp_ieee_underflow 0
		.amdhsa_exception_fp_ieee_inexact 0
		.amdhsa_exception_int_div_zero 0
	.end_amdhsa_kernel
	.text
.Lfunc_end0:
	.size	bluestein_single_back_len792_dim1_half_op_CI_CI, .Lfunc_end0-bluestein_single_back_len792_dim1_half_op_CI_CI
                                        ; -- End function
	.section	.AMDGPU.csdata,"",@progbits
; Kernel info:
; codeLenInByte = 18304
; NumSgprs: 31
; NumVgprs: 180
; ScratchSize: 0
; MemoryBound: 0
; FloatMode: 240
; IeeeMode: 1
; LDSByteSize: 6336 bytes/workgroup (compile time only)
; SGPRBlocks: 3
; VGPRBlocks: 44
; NumSGPRsForWavesPerEU: 31
; NumVGPRsForWavesPerEU: 180
; Occupancy: 1
; WaveLimiterHint : 1
; COMPUTE_PGM_RSRC2:SCRATCH_EN: 0
; COMPUTE_PGM_RSRC2:USER_SGPR: 6
; COMPUTE_PGM_RSRC2:TRAP_HANDLER: 0
; COMPUTE_PGM_RSRC2:TGID_X_EN: 1
; COMPUTE_PGM_RSRC2:TGID_Y_EN: 0
; COMPUTE_PGM_RSRC2:TGID_Z_EN: 0
; COMPUTE_PGM_RSRC2:TIDIG_COMP_CNT: 0
	.type	__hip_cuid_c6c3fd96f1c0ec4b,@object ; @__hip_cuid_c6c3fd96f1c0ec4b
	.section	.bss,"aw",@nobits
	.globl	__hip_cuid_c6c3fd96f1c0ec4b
__hip_cuid_c6c3fd96f1c0ec4b:
	.byte	0                               ; 0x0
	.size	__hip_cuid_c6c3fd96f1c0ec4b, 1

	.ident	"AMD clang version 19.0.0git (https://github.com/RadeonOpenCompute/llvm-project roc-6.4.0 25133 c7fe45cf4b819c5991fe208aaa96edf142730f1d)"
	.section	".note.GNU-stack","",@progbits
	.addrsig
	.addrsig_sym __hip_cuid_c6c3fd96f1c0ec4b
	.amdgpu_metadata
---
amdhsa.kernels:
  - .args:
      - .actual_access:  read_only
        .address_space:  global
        .offset:         0
        .size:           8
        .value_kind:     global_buffer
      - .actual_access:  read_only
        .address_space:  global
        .offset:         8
        .size:           8
        .value_kind:     global_buffer
      - .actual_access:  read_only
        .address_space:  global
        .offset:         16
        .size:           8
        .value_kind:     global_buffer
      - .actual_access:  read_only
        .address_space:  global
        .offset:         24
        .size:           8
        .value_kind:     global_buffer
      - .actual_access:  read_only
        .address_space:  global
        .offset:         32
        .size:           8
        .value_kind:     global_buffer
      - .offset:         40
        .size:           8
        .value_kind:     by_value
      - .address_space:  global
        .offset:         48
        .size:           8
        .value_kind:     global_buffer
      - .address_space:  global
        .offset:         56
        .size:           8
        .value_kind:     global_buffer
      - .address_space:  global
        .offset:         64
        .size:           8
        .value_kind:     global_buffer
      - .address_space:  global
        .offset:         72
        .size:           8
        .value_kind:     global_buffer
      - .offset:         80
        .size:           4
        .value_kind:     by_value
      - .address_space:  global
        .offset:         88
        .size:           8
        .value_kind:     global_buffer
      - .address_space:  global
        .offset:         96
        .size:           8
        .value_kind:     global_buffer
    .group_segment_fixed_size: 6336
    .kernarg_segment_align: 8
    .kernarg_segment_size: 104
    .language:       OpenCL C
    .language_version:
      - 2
      - 0
    .max_flat_workgroup_size: 176
    .name:           bluestein_single_back_len792_dim1_half_op_CI_CI
    .private_segment_fixed_size: 0
    .sgpr_count:     31
    .sgpr_spill_count: 0
    .symbol:         bluestein_single_back_len792_dim1_half_op_CI_CI.kd
    .uniform_work_group_size: 1
    .uses_dynamic_stack: false
    .vgpr_count:     180
    .vgpr_spill_count: 0
    .wavefront_size: 64
amdhsa.target:   amdgcn-amd-amdhsa--gfx906
amdhsa.version:
  - 1
  - 2
...

	.end_amdgpu_metadata
